;; amdgpu-corpus repo=ROCm/rocSOLVER kind=compiled arch=gfx1100 opt=O3
	.text
	.amdgcn_target "amdgcn-amd-amdhsa--gfx1100"
	.amdhsa_code_object_version 6
	.section	.text._ZN9rocsolver6v33100L6iota_nIfEEvPT_jS2_,"axG",@progbits,_ZN9rocsolver6v33100L6iota_nIfEEvPT_jS2_,comdat
	.globl	_ZN9rocsolver6v33100L6iota_nIfEEvPT_jS2_ ; -- Begin function _ZN9rocsolver6v33100L6iota_nIfEEvPT_jS2_
	.p2align	8
	.type	_ZN9rocsolver6v33100L6iota_nIfEEvPT_jS2_,@function
_ZN9rocsolver6v33100L6iota_nIfEEvPT_jS2_: ; @_ZN9rocsolver6v33100L6iota_nIfEEvPT_jS2_
; %bb.0:
	s_load_b64 s[2:3], s[0:1], 0x8
	s_waitcnt lgkmcnt(0)
	v_cmp_gt_u32_e32 vcc_lo, s2, v0
	s_and_saveexec_b32 s2, vcc_lo
	s_cbranch_execz .LBB0_2
; %bb.1:
	s_load_b64 s[0:1], s[0:1], 0x0
	v_cvt_f32_ubyte0_e32 v1, v0
	s_delay_alu instid0(VALU_DEP_1)
	v_dual_add_f32 v1, s3, v1 :: v_dual_lshlrev_b32 v0, 2, v0
	s_waitcnt lgkmcnt(0)
	global_store_b32 v0, v1, s[0:1]
.LBB0_2:
	s_nop 0
	s_sendmsg sendmsg(MSG_DEALLOC_VGPRS)
	s_endpgm
	.section	.rodata,"a",@progbits
	.p2align	6, 0x0
	.amdhsa_kernel _ZN9rocsolver6v33100L6iota_nIfEEvPT_jS2_
		.amdhsa_group_segment_fixed_size 0
		.amdhsa_private_segment_fixed_size 0
		.amdhsa_kernarg_size 16
		.amdhsa_user_sgpr_count 15
		.amdhsa_user_sgpr_dispatch_ptr 0
		.amdhsa_user_sgpr_queue_ptr 0
		.amdhsa_user_sgpr_kernarg_segment_ptr 1
		.amdhsa_user_sgpr_dispatch_id 0
		.amdhsa_user_sgpr_private_segment_size 0
		.amdhsa_wavefront_size32 1
		.amdhsa_uses_dynamic_stack 0
		.amdhsa_enable_private_segment 0
		.amdhsa_system_sgpr_workgroup_id_x 1
		.amdhsa_system_sgpr_workgroup_id_y 0
		.amdhsa_system_sgpr_workgroup_id_z 0
		.amdhsa_system_sgpr_workgroup_info 0
		.amdhsa_system_vgpr_workitem_id 0
		.amdhsa_next_free_vgpr 2
		.amdhsa_next_free_sgpr 4
		.amdhsa_reserve_vcc 1
		.amdhsa_float_round_mode_32 0
		.amdhsa_float_round_mode_16_64 0
		.amdhsa_float_denorm_mode_32 3
		.amdhsa_float_denorm_mode_16_64 3
		.amdhsa_dx10_clamp 1
		.amdhsa_ieee_mode 1
		.amdhsa_fp16_overflow 0
		.amdhsa_workgroup_processor_mode 1
		.amdhsa_memory_ordered 1
		.amdhsa_forward_progress 0
		.amdhsa_shared_vgpr_count 0
		.amdhsa_exception_fp_ieee_invalid_op 0
		.amdhsa_exception_fp_denorm_src 0
		.amdhsa_exception_fp_ieee_div_zero 0
		.amdhsa_exception_fp_ieee_overflow 0
		.amdhsa_exception_fp_ieee_underflow 0
		.amdhsa_exception_fp_ieee_inexact 0
		.amdhsa_exception_int_div_zero 0
	.end_amdhsa_kernel
	.section	.text._ZN9rocsolver6v33100L6iota_nIfEEvPT_jS2_,"axG",@progbits,_ZN9rocsolver6v33100L6iota_nIfEEvPT_jS2_,comdat
.Lfunc_end0:
	.size	_ZN9rocsolver6v33100L6iota_nIfEEvPT_jS2_, .Lfunc_end0-_ZN9rocsolver6v33100L6iota_nIfEEvPT_jS2_
                                        ; -- End function
	.section	.AMDGPU.csdata,"",@progbits
; Kernel info:
; codeLenInByte = 72
; NumSgprs: 6
; NumVgprs: 2
; ScratchSize: 0
; MemoryBound: 0
; FloatMode: 240
; IeeeMode: 1
; LDSByteSize: 0 bytes/workgroup (compile time only)
; SGPRBlocks: 0
; VGPRBlocks: 0
; NumSGPRsForWavesPerEU: 6
; NumVGPRsForWavesPerEU: 2
; Occupancy: 16
; WaveLimiterHint : 0
; COMPUTE_PGM_RSRC2:SCRATCH_EN: 0
; COMPUTE_PGM_RSRC2:USER_SGPR: 15
; COMPUTE_PGM_RSRC2:TRAP_HANDLER: 0
; COMPUTE_PGM_RSRC2:TGID_X_EN: 1
; COMPUTE_PGM_RSRC2:TGID_Y_EN: 0
; COMPUTE_PGM_RSRC2:TGID_Z_EN: 0
; COMPUTE_PGM_RSRC2:TIDIG_COMP_CNT: 0
	.section	.text._ZN9rocsolver6v33100L10reset_infoIiiiEEvPT_T0_T1_S4_,"axG",@progbits,_ZN9rocsolver6v33100L10reset_infoIiiiEEvPT_T0_T1_S4_,comdat
	.globl	_ZN9rocsolver6v33100L10reset_infoIiiiEEvPT_T0_T1_S4_ ; -- Begin function _ZN9rocsolver6v33100L10reset_infoIiiiEEvPT_T0_T1_S4_
	.p2align	8
	.type	_ZN9rocsolver6v33100L10reset_infoIiiiEEvPT_T0_T1_S4_,@function
_ZN9rocsolver6v33100L10reset_infoIiiiEEvPT_T0_T1_S4_: ; @_ZN9rocsolver6v33100L10reset_infoIiiiEEvPT_T0_T1_S4_
; %bb.0:
	s_clause 0x1
	s_load_b32 s2, s[0:1], 0x24
	s_load_b128 s[4:7], s[0:1], 0x8
	s_waitcnt lgkmcnt(0)
	s_and_b32 s2, s2, 0xffff
	s_delay_alu instid0(SALU_CYCLE_1) | instskip(SKIP_1) | instid1(VALU_DEP_1)
	v_mad_u64_u32 v[1:2], null, s15, s2, v[0:1]
	s_mov_b32 s2, exec_lo
	v_cmpx_gt_i32_e64 s4, v1
	s_cbranch_execz .LBB1_2
; %bb.1:
	s_load_b64 s[0:1], s[0:1], 0x0
	v_ashrrev_i32_e32 v2, 31, v1
	s_mov_b32 s2, s5
	s_delay_alu instid0(SALU_CYCLE_1) | instskip(NEXT) | instid1(VALU_DEP_2)
	v_mad_u64_u32 v[4:5], null, v1, s6, s[2:3]
	v_lshlrev_b64 v[2:3], 2, v[1:2]
	s_waitcnt lgkmcnt(0)
	s_delay_alu instid0(VALU_DEP_1) | instskip(NEXT) | instid1(VALU_DEP_2)
	v_add_co_u32 v0, vcc_lo, s0, v2
	v_add_co_ci_u32_e32 v1, vcc_lo, s1, v3, vcc_lo
	global_store_b32 v[0:1], v4, off
.LBB1_2:
	s_nop 0
	s_sendmsg sendmsg(MSG_DEALLOC_VGPRS)
	s_endpgm
	.section	.rodata,"a",@progbits
	.p2align	6, 0x0
	.amdhsa_kernel _ZN9rocsolver6v33100L10reset_infoIiiiEEvPT_T0_T1_S4_
		.amdhsa_group_segment_fixed_size 0
		.amdhsa_private_segment_fixed_size 0
		.amdhsa_kernarg_size 280
		.amdhsa_user_sgpr_count 15
		.amdhsa_user_sgpr_dispatch_ptr 0
		.amdhsa_user_sgpr_queue_ptr 0
		.amdhsa_user_sgpr_kernarg_segment_ptr 1
		.amdhsa_user_sgpr_dispatch_id 0
		.amdhsa_user_sgpr_private_segment_size 0
		.amdhsa_wavefront_size32 1
		.amdhsa_uses_dynamic_stack 0
		.amdhsa_enable_private_segment 0
		.amdhsa_system_sgpr_workgroup_id_x 1
		.amdhsa_system_sgpr_workgroup_id_y 0
		.amdhsa_system_sgpr_workgroup_id_z 0
		.amdhsa_system_sgpr_workgroup_info 0
		.amdhsa_system_vgpr_workitem_id 0
		.amdhsa_next_free_vgpr 6
		.amdhsa_next_free_sgpr 16
		.amdhsa_reserve_vcc 1
		.amdhsa_float_round_mode_32 0
		.amdhsa_float_round_mode_16_64 0
		.amdhsa_float_denorm_mode_32 3
		.amdhsa_float_denorm_mode_16_64 3
		.amdhsa_dx10_clamp 1
		.amdhsa_ieee_mode 1
		.amdhsa_fp16_overflow 0
		.amdhsa_workgroup_processor_mode 1
		.amdhsa_memory_ordered 1
		.amdhsa_forward_progress 0
		.amdhsa_shared_vgpr_count 0
		.amdhsa_exception_fp_ieee_invalid_op 0
		.amdhsa_exception_fp_denorm_src 0
		.amdhsa_exception_fp_ieee_div_zero 0
		.amdhsa_exception_fp_ieee_overflow 0
		.amdhsa_exception_fp_ieee_underflow 0
		.amdhsa_exception_fp_ieee_inexact 0
		.amdhsa_exception_int_div_zero 0
	.end_amdhsa_kernel
	.section	.text._ZN9rocsolver6v33100L10reset_infoIiiiEEvPT_T0_T1_S4_,"axG",@progbits,_ZN9rocsolver6v33100L10reset_infoIiiiEEvPT_T0_T1_S4_,comdat
.Lfunc_end1:
	.size	_ZN9rocsolver6v33100L10reset_infoIiiiEEvPT_T0_T1_S4_, .Lfunc_end1-_ZN9rocsolver6v33100L10reset_infoIiiiEEvPT_T0_T1_S4_
                                        ; -- End function
	.section	.AMDGPU.csdata,"",@progbits
; Kernel info:
; codeLenInByte = 136
; NumSgprs: 18
; NumVgprs: 6
; ScratchSize: 0
; MemoryBound: 0
; FloatMode: 240
; IeeeMode: 1
; LDSByteSize: 0 bytes/workgroup (compile time only)
; SGPRBlocks: 2
; VGPRBlocks: 0
; NumSGPRsForWavesPerEU: 18
; NumVGPRsForWavesPerEU: 6
; Occupancy: 16
; WaveLimiterHint : 0
; COMPUTE_PGM_RSRC2:SCRATCH_EN: 0
; COMPUTE_PGM_RSRC2:USER_SGPR: 15
; COMPUTE_PGM_RSRC2:TRAP_HANDLER: 0
; COMPUTE_PGM_RSRC2:TGID_X_EN: 1
; COMPUTE_PGM_RSRC2:TGID_Y_EN: 0
; COMPUTE_PGM_RSRC2:TGID_Z_EN: 0
; COMPUTE_PGM_RSRC2:TIDIG_COMP_CNT: 0
	.section	.text._ZN9rocsolver6v33100L8set_zeroIfPfEEviiT0_iil13rocblas_fill_,"axG",@progbits,_ZN9rocsolver6v33100L8set_zeroIfPfEEviiT0_iil13rocblas_fill_,comdat
	.globl	_ZN9rocsolver6v33100L8set_zeroIfPfEEviiT0_iil13rocblas_fill_ ; -- Begin function _ZN9rocsolver6v33100L8set_zeroIfPfEEviiT0_iil13rocblas_fill_
	.p2align	8
	.type	_ZN9rocsolver6v33100L8set_zeroIfPfEEviiT0_iil13rocblas_fill_,@function
_ZN9rocsolver6v33100L8set_zeroIfPfEEviiT0_iil13rocblas_fill_: ; @_ZN9rocsolver6v33100L8set_zeroIfPfEEviiT0_iil13rocblas_fill_
; %bb.0:
	s_clause 0x1
	s_load_b32 s4, s[0:1], 0x34
	s_load_b64 s[2:3], s[0:1], 0x0
	v_and_b32_e32 v2, 0x3ff, v0
	v_bfe_u32 v3, v0, 10, 10
	s_waitcnt lgkmcnt(0)
	s_lshr_b32 s5, s4, 16
	s_and_b32 s4, s4, 0xffff
	s_delay_alu instid0(VALU_DEP_1) | instid1(SALU_CYCLE_1)
	v_mad_u64_u32 v[0:1], null, s13, s4, v[2:3]
	v_mad_u64_u32 v[1:2], null, s14, s5, v[3:4]
	s_delay_alu instid0(VALU_DEP_2) | instskip(NEXT) | instid1(VALU_DEP_2)
	v_cmp_gt_u32_e32 vcc_lo, s2, v0
	v_cmp_gt_u32_e64 s2, s3, v1
	s_delay_alu instid0(VALU_DEP_1) | instskip(NEXT) | instid1(SALU_CYCLE_1)
	s_and_b32 s2, vcc_lo, s2
	s_and_saveexec_b32 s3, s2
	s_cbranch_execz .LBB2_12
; %bb.1:
	s_load_b32 s3, s[0:1], 0x20
	s_waitcnt lgkmcnt(0)
	s_cmpk_lt_i32 s3, 0x7a
	s_cbranch_scc1 .LBB2_4
; %bb.2:
	s_cmpk_gt_i32 s3, 0x7a
	s_cbranch_scc0 .LBB2_5
; %bb.3:
	s_cmpk_eq_i32 s3, 0x7b
	s_cselect_b32 s2, -1, 0
	s_cbranch_execz .LBB2_6
	s_branch .LBB2_7
.LBB2_4:
	s_mov_b32 s2, 0
	s_cbranch_execnz .LBB2_8
	s_branch .LBB2_10
.LBB2_5:
	s_mov_b32 s2, 0
.LBB2_6:
	v_cmp_gt_u32_e32 vcc_lo, v1, v0
	s_and_not1_b32 s2, s2, exec_lo
	s_and_b32 s4, vcc_lo, exec_lo
	s_delay_alu instid0(SALU_CYCLE_1)
	s_or_b32 s2, s2, s4
.LBB2_7:
	s_branch .LBB2_10
.LBB2_8:
	s_cmpk_eq_i32 s3, 0x79
	s_cbranch_scc0 .LBB2_10
; %bb.9:
	v_cmp_gt_u32_e32 vcc_lo, v0, v1
	s_and_not1_b32 s2, s2, exec_lo
	s_and_b32 s3, vcc_lo, exec_lo
	s_delay_alu instid0(SALU_CYCLE_1)
	s_or_b32 s2, s2, s3
.LBB2_10:
	s_delay_alu instid0(SALU_CYCLE_1)
	s_and_b32 exec_lo, exec_lo, s2
	s_cbranch_execz .LBB2_12
; %bb.11:
	s_clause 0x1
	s_load_b128 s[4:7], s[0:1], 0x8
	s_load_b64 s[0:1], s[0:1], 0x18
	s_waitcnt lgkmcnt(0)
	v_mad_u64_u32 v[2:3], null, v1, s7, v[0:1]
	s_mul_i32 s1, s15, s1
	s_mul_hi_u32 s2, s15, s0
	v_mov_b32_e32 v3, 0
	s_mul_i32 s0, s15, s0
	s_add_i32 s1, s2, s1
	s_ashr_i32 s3, s6, 31
	s_lshl_b64 s[0:1], s[0:1], 2
	s_mov_b32 s2, s6
	v_lshlrev_b64 v[0:1], 2, v[2:3]
	s_add_u32 s4, s4, s0
	s_addc_u32 s5, s5, s1
	s_lshl_b64 s[0:1], s[2:3], 2
	s_delay_alu instid0(SALU_CYCLE_1)
	s_add_u32 s0, s4, s0
	s_addc_u32 s1, s5, s1
	v_add_co_u32 v0, vcc_lo, s0, v0
	v_add_co_ci_u32_e32 v1, vcc_lo, s1, v1, vcc_lo
	global_store_b32 v[0:1], v3, off
.LBB2_12:
	s_nop 0
	s_sendmsg sendmsg(MSG_DEALLOC_VGPRS)
	s_endpgm
	.section	.rodata,"a",@progbits
	.p2align	6, 0x0
	.amdhsa_kernel _ZN9rocsolver6v33100L8set_zeroIfPfEEviiT0_iil13rocblas_fill_
		.amdhsa_group_segment_fixed_size 0
		.amdhsa_private_segment_fixed_size 0
		.amdhsa_kernarg_size 296
		.amdhsa_user_sgpr_count 13
		.amdhsa_user_sgpr_dispatch_ptr 0
		.amdhsa_user_sgpr_queue_ptr 0
		.amdhsa_user_sgpr_kernarg_segment_ptr 1
		.amdhsa_user_sgpr_dispatch_id 0
		.amdhsa_user_sgpr_private_segment_size 0
		.amdhsa_wavefront_size32 1
		.amdhsa_uses_dynamic_stack 0
		.amdhsa_enable_private_segment 0
		.amdhsa_system_sgpr_workgroup_id_x 1
		.amdhsa_system_sgpr_workgroup_id_y 1
		.amdhsa_system_sgpr_workgroup_id_z 1
		.amdhsa_system_sgpr_workgroup_info 0
		.amdhsa_system_vgpr_workitem_id 1
		.amdhsa_next_free_vgpr 5
		.amdhsa_next_free_sgpr 16
		.amdhsa_reserve_vcc 1
		.amdhsa_float_round_mode_32 0
		.amdhsa_float_round_mode_16_64 0
		.amdhsa_float_denorm_mode_32 3
		.amdhsa_float_denorm_mode_16_64 3
		.amdhsa_dx10_clamp 1
		.amdhsa_ieee_mode 1
		.amdhsa_fp16_overflow 0
		.amdhsa_workgroup_processor_mode 1
		.amdhsa_memory_ordered 1
		.amdhsa_forward_progress 0
		.amdhsa_shared_vgpr_count 0
		.amdhsa_exception_fp_ieee_invalid_op 0
		.amdhsa_exception_fp_denorm_src 0
		.amdhsa_exception_fp_ieee_div_zero 0
		.amdhsa_exception_fp_ieee_overflow 0
		.amdhsa_exception_fp_ieee_underflow 0
		.amdhsa_exception_fp_ieee_inexact 0
		.amdhsa_exception_int_div_zero 0
	.end_amdhsa_kernel
	.section	.text._ZN9rocsolver6v33100L8set_zeroIfPfEEviiT0_iil13rocblas_fill_,"axG",@progbits,_ZN9rocsolver6v33100L8set_zeroIfPfEEviiT0_iil13rocblas_fill_,comdat
.Lfunc_end2:
	.size	_ZN9rocsolver6v33100L8set_zeroIfPfEEviiT0_iil13rocblas_fill_, .Lfunc_end2-_ZN9rocsolver6v33100L8set_zeroIfPfEEviiT0_iil13rocblas_fill_
                                        ; -- End function
	.section	.AMDGPU.csdata,"",@progbits
; Kernel info:
; codeLenInByte = 356
; NumSgprs: 18
; NumVgprs: 5
; ScratchSize: 0
; MemoryBound: 0
; FloatMode: 240
; IeeeMode: 1
; LDSByteSize: 0 bytes/workgroup (compile time only)
; SGPRBlocks: 2
; VGPRBlocks: 0
; NumSGPRsForWavesPerEU: 18
; NumVGPRsForWavesPerEU: 5
; Occupancy: 16
; WaveLimiterHint : 0
; COMPUTE_PGM_RSRC2:SCRATCH_EN: 0
; COMPUTE_PGM_RSRC2:USER_SGPR: 13
; COMPUTE_PGM_RSRC2:TRAP_HANDLER: 0
; COMPUTE_PGM_RSRC2:TGID_X_EN: 1
; COMPUTE_PGM_RSRC2:TGID_Y_EN: 1
; COMPUTE_PGM_RSRC2:TGID_Z_EN: 1
; COMPUTE_PGM_RSRC2:TIDIG_COMP_CNT: 1
	.section	.text._ZN9rocsolver6v33100L18geqr2_kernel_smallILi256EfifPfEEvT1_S3_T3_lS3_lPT2_lPT0_l,"axG",@progbits,_ZN9rocsolver6v33100L18geqr2_kernel_smallILi256EfifPfEEvT1_S3_T3_lS3_lPT2_lPT0_l,comdat
	.globl	_ZN9rocsolver6v33100L18geqr2_kernel_smallILi256EfifPfEEvT1_S3_T3_lS3_lPT2_lPT0_l ; -- Begin function _ZN9rocsolver6v33100L18geqr2_kernel_smallILi256EfifPfEEvT1_S3_T3_lS3_lPT2_lPT0_l
	.p2align	8
	.type	_ZN9rocsolver6v33100L18geqr2_kernel_smallILi256EfifPfEEvT1_S3_T3_lS3_lPT2_lPT0_l,@function
_ZN9rocsolver6v33100L18geqr2_kernel_smallILi256EfifPfEEvT1_S3_T3_lS3_lPT2_lPT0_l: ; @_ZN9rocsolver6v33100L18geqr2_kernel_smallILi256EfifPfEEvT1_S3_T3_lS3_lPT2_lPT0_l
; %bb.0:
	s_clause 0x4
	s_load_b256 s[4:11], s[0:1], 0x20
	s_load_b64 s[12:13], s[0:1], 0x0
	s_load_b128 s[24:27], s[0:1], 0x8
	s_load_b32 s16, s[0:1], 0x18
	s_load_b64 s[2:3], s[0:1], 0x40
	s_ashr_i32 s20, s15, 31
	v_and_b32_e32 v1, 0x7f, v0
	v_lshrrev_b32_e32 v5, 7, v0
	s_delay_alu instid0(VALU_DEP_2)
	v_lshlrev_b32_e32 v6, 2, v1
	s_waitcnt lgkmcnt(0)
	s_mul_i32 s0, s15, s5
	s_mul_hi_u32 s1, s15, s4
	s_mul_i32 s5, s20, s4
	s_add_i32 s1, s1, s0
	s_mul_i32 s0, s15, s4
	s_add_i32 s1, s1, s5
	s_delay_alu instid0(SALU_CYCLE_1) | instskip(SKIP_4) | instid1(SALU_CYCLE_1)
	s_lshl_b64 s[4:5], s[0:1], 2
	v_cmp_gt_i32_e64 s0, s12, v1
	s_add_u32 s1, s24, s4
	s_addc_u32 s4, s25, s5
	s_lshl_b64 s[18:19], s[26:27], 2
	s_add_u32 s5, s1, s18
	s_addc_u32 s14, s4, s19
	s_and_saveexec_b32 s4, s0
	s_cbranch_execz .LBB3_6
; %bb.1:
	v_lshrrev_b32_e32 v7, 7, v0
	s_mov_b32 s17, 0
	s_lshl_b32 s18, s12, 3
	s_lshl_b32 s19, s16, 1
	v_mov_b32_e32 v9, v1
	v_mul_lo_u32 v2, s12, v7
	v_cmp_gt_i32_e32 vcc_lo, s13, v7
	s_delay_alu instid0(VALU_DEP_2) | instskip(SKIP_1) | instid1(VALU_DEP_2)
	v_lshlrev_b32_e32 v4, 2, v2
	v_mad_u64_u32 v[2:3], null, s16, v7, v[1:2]
	v_add3_u32 v8, v4, v6, 0
	s_set_inst_prefetch_distance 0x1
	s_branch .LBB3_3
	.p2align	6
.LBB3_2:                                ;   in Loop: Header=BB3_3 Depth=1
	s_or_b32 exec_lo, exec_lo, s21
	v_add_nc_u32_e32 v9, 0x80, v9
	v_add_nc_u32_e32 v8, 0x200, v8
	;; [unrolled: 1-line block ×3, first 2 shown]
	s_delay_alu instid0(VALU_DEP_3) | instskip(NEXT) | instid1(VALU_DEP_1)
	v_cmp_le_i32_e64 s1, s12, v9
	s_or_b32 s17, s1, s17
	s_delay_alu instid0(SALU_CYCLE_1)
	s_and_not1_b32 exec_lo, exec_lo, s17
	s_cbranch_execz .LBB3_6
.LBB3_3:                                ; =>This Loop Header: Depth=1
                                        ;     Child Loop BB3_5 Depth 2
	s_and_saveexec_b32 s21, vcc_lo
	s_cbranch_execz .LBB3_2
; %bb.4:                                ;   in Loop: Header=BB3_3 Depth=1
	s_delay_alu instid0(VALU_DEP_2)
	v_dual_mov_b32 v3, v2 :: v_dual_mov_b32 v10, v8
	v_mov_b32_e32 v11, v7
	s_mov_b32 s22, 0
	.p2align	6
.LBB3_5:                                ;   Parent Loop BB3_3 Depth=1
                                        ; =>  This Inner Loop Header: Depth=2
	s_delay_alu instid0(VALU_DEP_2) | instskip(NEXT) | instid1(VALU_DEP_2)
	v_ashrrev_i32_e32 v4, 31, v3
	v_add_nc_u32_e32 v11, 2, v11
	s_delay_alu instid0(VALU_DEP_2) | instskip(SKIP_1) | instid1(VALU_DEP_2)
	v_lshlrev_b64 v[12:13], 2, v[3:4]
	v_add_nc_u32_e32 v3, s19, v3
	v_add_co_u32 v12, s1, s5, v12
	s_delay_alu instid0(VALU_DEP_1)
	v_add_co_ci_u32_e64 v13, s1, s14, v13, s1
	v_cmp_le_i32_e64 s1, s13, v11
	global_load_b32 v4, v[12:13], off
	s_or_b32 s22, s1, s22
	s_waitcnt vmcnt(0)
	ds_store_b32 v10, v4
	v_add_nc_u32_e32 v10, s18, v10
	s_and_not1_b32 exec_lo, exec_lo, s22
	s_cbranch_execnz .LBB3_5
	s_branch .LBB3_2
.LBB3_6:
	s_set_inst_prefetch_distance 0x2
	s_or_b32 exec_lo, exec_lo, s4
	s_min_i32 s17, s13, s12
	s_waitcnt lgkmcnt(0)
	s_cmp_lt_i32 s17, 1
	s_barrier
	buffer_gl0_inv
	s_cbranch_scc1 .LBB3_42
; %bb.7:
	v_mbcnt_lo_u32_b32 v8, -1, 0
	s_mul_i32 s1, s15, s9
	s_mul_hi_u32 s4, s15, s8
	v_and_b32_e32 v10, 31, v0
	s_add_i32 s1, s4, s1
	v_cmp_ne_u32_e32 vcc_lo, 31, v8
	s_mul_i32 s4, s20, s8
	s_mul_i32 s8, s15, s8
	s_add_i32 s9, s1, s4
	s_mul_i32 s1, s15, s3
	v_add_co_ci_u32_e32 v2, vcc_lo, 0, v8, vcc_lo
	v_cmp_gt_u32_e32 vcc_lo, 30, v8
	s_lshl_b64 s[8:9], s[8:9], 2
	s_mul_hi_u32 s3, s15, s2
	s_add_u32 s18, s6, s8
	s_addc_u32 s19, s7, s9
	v_cndmask_b32_e64 v3, 0, 1, vcc_lo
	v_cmp_gt_u32_e32 vcc_lo, 28, v8
	s_add_i32 s1, s3, s1
	s_mul_i32 s3, s20, s2
	s_mul_i32 s2, s15, s2
	s_add_i32 s3, s1, s3
	v_cndmask_b32_e64 v4, 0, 1, vcc_lo
	v_cmp_gt_u32_e32 vcc_lo, 24, v8
	s_lshl_b64 s[2:3], s[2:3], 2
	s_mul_i32 s1, s13, s12
	s_add_u32 s10, s10, s2
	s_addc_u32 s11, s11, s3
	v_cndmask_b32_e64 v7, 0, 1, vcc_lo
	v_cmp_gt_u32_e32 vcc_lo, 16, v8
	s_lshl_b32 s1, s1, 2
	v_lshlrev_b32_e32 v3, 1, v3
	s_add_i32 s15, s1, 0
	s_lshl_b32 s1, s13, 2
	v_cndmask_b32_e64 v9, 0, 1, vcc_lo
	s_add_i32 s20, s15, s1
	v_cmp_eq_u32_e64 s1, 0, v10
	v_mad_u64_u32 v[10:11], null, s12, v0, s[12:13]
	s_cmp_eq_u64 s[6:7], 0
	v_lshlrev_b32_e32 v4, 2, v4
	v_lshlrev_b32_e32 v7, 3, v7
	;; [unrolled: 1-line block ×3, first 2 shown]
	v_lshrrev_b32_e32 v12, 3, v0
	v_lshlrev_b32_e32 v11, 2, v0
	s_cselect_b32 s21, -1, 0
	s_cmp_lg_u64 s[6:7], 0
	v_dual_mov_b32 v13, 0 :: v_dual_lshlrev_b32 v2, 2, v2
	s_cselect_b32 s6, -1, 0
	s_lshl_b32 s7, s12, 2
	v_add_lshl_u32 v3, v3, v8, 2
	v_add_lshl_u32 v4, v4, v8, 2
	;; [unrolled: 1-line block ×4, first 2 shown]
	v_cmp_eq_u32_e64 s2, 0, v0
	v_add3_u32 v9, v11, 0, 4
	v_lshl_add_u32 v10, v10, 2, 0
	v_add3_u32 v11, 0, s7, v11
	v_add_nc_u32_e32 v12, s20, v12
	s_mov_b32 s9, 0
	s_add_i32 s22, s7, 4
	s_lshl_b32 s23, s12, 10
	s_mov_b32 s24, 0
	s_mov_b32 s8, s9
	s_branch .LBB3_9
.LBB3_8:                                ;   in Loop: Header=BB3_9 Depth=1
	s_set_inst_prefetch_distance 0x2
	s_or_b32 exec_lo, exec_lo, s4
	v_add_nc_u32_e32 v9, s22, v9
	v_add_nc_u32_e32 v10, s22, v10
	;; [unrolled: 1-line block ×3, first 2 shown]
	s_add_i32 s8, s8, 1
	s_add_i32 s24, s24, s22
	s_cmp_eq_u32 s8, s17
	s_waitcnt lgkmcnt(0)
	s_barrier
	buffer_gl0_inv
	s_cbranch_scc1 .LBB3_42
.LBB3_9:                                ; =>This Loop Header: Depth=1
                                        ;     Child Loop BB3_11 Depth 2
                                        ;     Child Loop BB3_25 Depth 2
	;; [unrolled: 1-line block ×3, first 2 shown]
                                        ;       Child Loop BB3_31 Depth 3
                                        ;     Child Loop BB3_35 Depth 2
                                        ;       Child Loop BB3_37 Depth 3
	s_sub_i32 s25, s12, s8
	v_mov_b32_e32 v14, 0
	s_add_i32 s27, s25, -1
	s_delay_alu instid0(SALU_CYCLE_1) | instskip(NEXT) | instid1(VALU_DEP_1)
	v_cmp_gt_i32_e64 s3, s27, v0
	s_and_saveexec_b32 s4, s3
	s_cbranch_execz .LBB3_13
; %bb.10:                               ;   in Loop: Header=BB3_9 Depth=1
	v_dual_mov_b32 v14, 0 :: v_dual_mov_b32 v15, v9
	v_mov_b32_e32 v16, v0
	s_mov_b32 s26, 0
.LBB3_11:                               ;   Parent Loop BB3_9 Depth=1
                                        ; =>  This Inner Loop Header: Depth=2
	ds_load_b32 v17, v15
	s_waitcnt lgkmcnt(0)
	v_dual_mul_f32 v17, v17, v17 :: v_dual_add_nc_u32 v16, 0x100, v16
	s_delay_alu instid0(VALU_DEP_1) | instskip(NEXT) | instid1(VALU_DEP_2)
	v_cmp_le_i32_e32 vcc_lo, s27, v16
	v_dual_add_f32 v14, v14, v17 :: v_dual_add_nc_u32 v15, 0x400, v15
	s_or_b32 s26, vcc_lo, s26
	s_delay_alu instid0(SALU_CYCLE_1)
	s_and_not1_b32 exec_lo, exec_lo, s26
	s_cbranch_execnz .LBB3_11
; %bb.12:                               ;   in Loop: Header=BB3_9 Depth=1
	s_or_b32 exec_lo, exec_lo, s26
.LBB3_13:                               ;   in Loop: Header=BB3_9 Depth=1
	s_delay_alu instid0(SALU_CYCLE_1)
	s_or_b32 exec_lo, exec_lo, s4
	ds_bpermute_b32 v15, v2, v14
	s_waitcnt lgkmcnt(0)
	v_add_f32_e32 v14, v14, v15
	ds_bpermute_b32 v15, v3, v14
	s_waitcnt lgkmcnt(0)
	v_add_f32_e32 v14, v14, v15
	;; [unrolled: 3-line block ×5, first 2 shown]
	s_and_saveexec_b32 s4, s1
	s_cbranch_execz .LBB3_15
; %bb.14:                               ;   in Loop: Header=BB3_9 Depth=1
	ds_store_b32 v12, v14 offset:4
.LBB3_15:                               ;   in Loop: Header=BB3_9 Depth=1
	s_or_b32 exec_lo, exec_lo, s4
	s_lshl_b32 s4, s8, 2
	s_mul_i32 s26, s8, s12
	s_add_i32 s4, s4, 0
	s_lshl_b32 s26, s26, 2
	s_waitcnt lgkmcnt(0)
	s_add_i32 s26, s4, s26
	s_barrier
	buffer_gl0_inv
	s_and_saveexec_b32 s28, s2
	s_cbranch_execz .LBB3_23
; %bb.16:                               ;   in Loop: Header=BB3_9 Depth=1
	v_mov_b32_e32 v21, s20
	s_mov_b32 s4, 0
	s_mov_b32 s31, 0
	s_mov_b32 s33, exec_lo
                                        ; implicit-def: $sgpr30
                                        ; implicit-def: $sgpr29
                                        ; implicit-def: $sgpr34
	ds_load_2addr_b32 v[15:16], v21 offset0:2 offset1:3
	ds_load_2addr_b32 v[17:18], v21 offset0:4 offset1:5
	;; [unrolled: 1-line block ×3, first 2 shown]
	ds_load_b32 v21, v21 offset:32
	s_waitcnt lgkmcnt(3)
	v_add_f32_e32 v14, v14, v15
	s_delay_alu instid0(VALU_DEP_1) | instskip(SKIP_1) | instid1(VALU_DEP_1)
	v_add_f32_e32 v14, v14, v16
	s_waitcnt lgkmcnt(2)
	v_add_f32_e32 v14, v14, v17
	s_delay_alu instid0(VALU_DEP_1) | instskip(SKIP_1) | instid1(VALU_DEP_1)
	v_add_f32_e32 v14, v14, v18
	;; [unrolled: 4-line block ×3, first 2 shown]
	s_waitcnt lgkmcnt(0)
	v_add_f32_e32 v16, v14, v21
                                        ; implicit-def: $vgpr14
	s_delay_alu instid0(VALU_DEP_1)
	v_cmpx_nlt_f32_e32 0, v16
	s_xor_b32 s33, exec_lo, s33
	s_cbranch_execnz .LBB3_38
; %bb.17:                               ;   in Loop: Header=BB3_9 Depth=1
	s_or_saveexec_b32 s33, s33
	v_mov_b32_e32 v15, s34
	s_xor_b32 exec_lo, exec_lo, s33
	s_cbranch_execnz .LBB3_41
.LBB3_18:                               ;   in Loop: Header=BB3_9 Depth=1
	s_or_b32 exec_lo, exec_lo, s33
	s_and_saveexec_b32 s33, s31
	s_cbranch_execz .LBB3_20
.LBB3_19:                               ;   in Loop: Header=BB3_9 Depth=1
	s_lshl_b64 s[34:35], s[8:9], 2
	s_delay_alu instid0(SALU_CYCLE_1)
	s_add_u32 s34, s18, s34
	s_addc_u32 s35, s19, s35
	s_or_b32 s4, s4, exec_lo
	s_waitcnt lgkmcnt(0)
	global_store_b32 v13, v14, s[34:35]
	v_mov_b32_e32 v14, 1.0
.LBB3_20:                               ;   in Loop: Header=BB3_9 Depth=1
	s_or_b32 exec_lo, exec_lo, s33
	v_dual_mov_b32 v16, s29 :: v_dual_mov_b32 v17, s30
	s_and_saveexec_b32 s29, s4
	s_cbranch_execz .LBB3_22
; %bb.21:                               ;   in Loop: Header=BB3_9 Depth=1
	v_dual_mov_b32 v16, s26 :: v_dual_mov_b32 v17, s20
	s_waitcnt lgkmcnt(0)
	ds_store_b32 v16, v14
	ds_load_b32 v16, v17
	v_mov_b32_e32 v17, v15
.LBB3_22:                               ;   in Loop: Header=BB3_9 Depth=1
	s_or_b32 exec_lo, exec_lo, s29
	s_lshl_b64 s[30:31], s[8:9], 2
	s_waitcnt lgkmcnt(0)
	v_mov_b32_e32 v14, s20
	s_add_u32 s30, s10, s30
	s_addc_u32 s31, s11, s31
	global_store_b32 v13, v16, s[30:31]
	ds_store_b32 v14, v17 offset:4
.LBB3_23:                               ;   in Loop: Header=BB3_9 Depth=1
	s_or_b32 exec_lo, exec_lo, s28
	s_waitcnt lgkmcnt(0)
	s_waitcnt_vscnt null, 0x0
	s_barrier
	buffer_gl0_inv
	s_and_saveexec_b32 s4, s3
	s_cbranch_execz .LBB3_26
; %bb.24:                               ;   in Loop: Header=BB3_9 Depth=1
	v_mov_b32_e32 v14, v0
	s_mov_b32 s3, 0
	s_mov_b32 s28, 0
.LBB3_25:                               ;   Parent Loop BB3_9 Depth=1
                                        ; =>  This Inner Loop Header: Depth=2
	s_delay_alu instid0(SALU_CYCLE_1)
	v_dual_mov_b32 v15, s20 :: v_dual_add_nc_u32 v16, s28, v9
	s_addk_i32 s28, 0x400
	ds_load_b32 v15, v15 offset:4
	ds_load_b32 v17, v16
	s_waitcnt lgkmcnt(0)
	v_dual_mul_f32 v15, v15, v17 :: v_dual_add_nc_u32 v14, 0x100, v14
	s_delay_alu instid0(VALU_DEP_1) | instskip(SKIP_2) | instid1(SALU_CYCLE_1)
	v_cmp_le_i32_e32 vcc_lo, s27, v14
	ds_store_b32 v16, v15
	s_or_b32 s3, vcc_lo, s3
	s_and_not1_b32 exec_lo, exec_lo, s3
	s_cbranch_execnz .LBB3_25
.LBB3_26:                               ;   in Loop: Header=BB3_9 Depth=1
	s_or_b32 exec_lo, exec_lo, s4
	s_not_b32 s3, s8
	s_mov_b32 s4, exec_lo
	s_add_i32 s3, s3, s13
	s_waitcnt lgkmcnt(0)
	s_barrier
	buffer_gl0_inv
	v_cmpx_gt_i32_e64 s3, v0
	s_cbranch_execz .LBB3_32
; %bb.27:                               ;   in Loop: Header=BB3_9 Depth=1
	v_dual_mov_b32 v14, v10 :: v_dual_mov_b32 v15, v0
	s_cmp_gt_i32 s25, 0
	s_mov_b32 s28, 0
	s_cselect_b32 s27, -1, 0
	s_set_inst_prefetch_distance 0x1
	s_branch .LBB3_29
	.p2align	6
.LBB3_28:                               ;   in Loop: Header=BB3_29 Depth=2
	v_dual_mov_b32 v17, s20 :: v_dual_add_nc_u32 v14, s23, v14
	v_lshl_add_u32 v18, v15, 2, s15
	ds_load_b32 v17, v17
	s_waitcnt lgkmcnt(0)
	v_dual_mul_f32 v16, v16, v17 :: v_dual_add_nc_u32 v15, 0x100, v15
	s_delay_alu instid0(VALU_DEP_1) | instskip(SKIP_2) | instid1(SALU_CYCLE_1)
	v_cmp_le_i32_e32 vcc_lo, s3, v15
	ds_store_b32 v18, v16
	s_or_b32 s28, vcc_lo, s28
	s_and_not1_b32 exec_lo, exec_lo, s28
	s_cbranch_execz .LBB3_32
.LBB3_29:                               ;   Parent Loop BB3_9 Depth=1
                                        ; =>  This Loop Header: Depth=2
                                        ;       Child Loop BB3_31 Depth 3
	v_mov_b32_e32 v16, 0
	s_and_not1_b32 vcc_lo, exec_lo, s27
	s_cbranch_vccnz .LBB3_28
; %bb.30:                               ;   in Loop: Header=BB3_29 Depth=2
	v_mov_b32_e32 v17, v14
	s_mov_b32 s29, 0
	s_mov_b32 s30, s24
.LBB3_31:                               ;   Parent Loop BB3_9 Depth=1
                                        ;     Parent Loop BB3_29 Depth=2
                                        ; =>    This Inner Loop Header: Depth=3
	s_delay_alu instid0(SALU_CYCLE_1)
	v_mov_b32_e32 v18, s30
	s_add_i32 s29, s29, 1
	s_add_i32 s30, s30, 4
	s_cmp_ge_i32 s29, s25
	ds_load_b32 v19, v17
	ds_load_b32 v18, v18
	s_waitcnt lgkmcnt(0)
	v_dual_fmac_f32 v16, v19, v18 :: v_dual_add_nc_u32 v17, 4, v17
	s_cbranch_scc0 .LBB3_31
	s_branch .LBB3_28
.LBB3_32:                               ;   in Loop: Header=BB3_9 Depth=1
	s_set_inst_prefetch_distance 0x2
	s_or_b32 exec_lo, exec_lo, s4
	s_delay_alu instid0(SALU_CYCLE_1)
	s_mov_b32 s4, exec_lo
	s_waitcnt lgkmcnt(0)
	s_barrier
	buffer_gl0_inv
	v_cmpx_gt_i32_e64 s25, v0
	s_cbranch_execz .LBB3_8
; %bb.33:                               ;   in Loop: Header=BB3_9 Depth=1
	v_dual_mov_b32 v14, v11 :: v_dual_mov_b32 v15, v0
	s_cmp_gt_i32 s3, 0
	s_mov_b32 s28, 0
	s_cselect_b32 s27, -1, 0
	s_set_inst_prefetch_distance 0x1
	s_branch .LBB3_35
	.p2align	6
.LBB3_34:                               ;   in Loop: Header=BB3_35 Depth=2
	v_add_nc_u32_e32 v15, 0x100, v15
	v_add_nc_u32_e32 v14, 0x400, v14
	s_delay_alu instid0(VALU_DEP_2) | instskip(SKIP_1) | instid1(SALU_CYCLE_1)
	v_cmp_le_i32_e32 vcc_lo, s25, v15
	s_or_b32 s28, vcc_lo, s28
	s_and_not1_b32 exec_lo, exec_lo, s28
	s_cbranch_execz .LBB3_8
.LBB3_35:                               ;   Parent Loop BB3_9 Depth=1
                                        ; =>  This Loop Header: Depth=2
                                        ;       Child Loop BB3_37 Depth 3
	s_and_not1_b32 vcc_lo, exec_lo, s27
	s_cbranch_vccnz .LBB3_34
; %bb.36:                               ;   in Loop: Header=BB3_35 Depth=2
	v_lshl_add_u32 v16, v15, 2, s26
	v_mov_b32_e32 v17, v14
	s_mov_b32 s29, 0
	s_mov_b32 s30, s15
	.p2align	6
.LBB3_37:                               ;   Parent Loop BB3_9 Depth=1
                                        ;     Parent Loop BB3_35 Depth=2
                                        ; =>    This Inner Loop Header: Depth=3
	s_delay_alu instid0(SALU_CYCLE_1)
	v_mov_b32_e32 v18, s30
	s_add_i32 s29, s29, 1
	s_add_i32 s30, s30, 4
	ds_load_b32 v19, v17
	ds_load_b32 v20, v16
	;; [unrolled: 1-line block ×3, first 2 shown]
	s_cmp_ge_i32 s29, s3
	s_waitcnt lgkmcnt(0)
	v_fma_f32 v18, -v20, v18, v19
	ds_store_b32 v17, v18
	v_add_nc_u32_e32 v17, s7, v17
	s_cbranch_scc0 .LBB3_37
	s_branch .LBB3_34
.LBB3_38:                               ;   in Loop: Header=BB3_9 Depth=1
	v_mov_b32_e32 v15, s20
	s_mov_b32 s29, 0
	s_and_b32 vcc_lo, exec_lo, s6
                                        ; implicit-def: $vgpr14
                                        ; implicit-def: $sgpr34
	ds_store_b32 v15, v13
	s_cbranch_vccz .LBB3_40
; %bb.39:                               ;   in Loop: Header=BB3_9 Depth=1
	v_mov_b32_e32 v14, s26
	s_mov_b32 s31, -1
	s_mov_b32 s34, 1.0
	ds_load_b32 v14, v14
.LBB3_40:                               ;   in Loop: Header=BB3_9 Depth=1
	s_mov_b32 s30, 1.0
	s_and_b32 s31, s31, exec_lo
                                        ; implicit-def: $vgpr16
	s_or_saveexec_b32 s33, s33
	v_mov_b32_e32 v15, s34
	s_xor_b32 exec_lo, exec_lo, s33
	s_cbranch_execz .LBB3_18
.LBB3_41:                               ;   in Loop: Header=BB3_9 Depth=1
	s_waitcnt lgkmcnt(0)
	v_mov_b32_e32 v14, s26
	s_and_not1_b32 s31, s31, exec_lo
	s_and_b32 s34, s6, exec_lo
	s_delay_alu instid0(SALU_CYCLE_1) | instskip(SKIP_3) | instid1(VALU_DEP_1)
	s_or_b32 s31, s31, s34
	ds_load_b32 v15, v14
	s_waitcnt lgkmcnt(0)
	v_fmac_f32_e32 v16, v15, v15
	v_mul_f32_e32 v14, 0x4f800000, v16
	v_cmp_gt_f32_e32 vcc_lo, 0xf800000, v16
	s_delay_alu instid0(VALU_DEP_2) | instskip(NEXT) | instid1(VALU_DEP_1)
	v_cndmask_b32_e32 v14, v16, v14, vcc_lo
	v_sqrt_f32_e32 v16, v14
	s_waitcnt_depctr 0xfff
	v_add_nc_u32_e32 v17, -1, v16
	v_add_nc_u32_e32 v18, 1, v16
	s_delay_alu instid0(VALU_DEP_2) | instskip(NEXT) | instid1(VALU_DEP_2)
	v_fma_f32 v19, -v17, v16, v14
	v_fma_f32 v20, -v18, v16, v14
	s_delay_alu instid0(VALU_DEP_2) | instskip(NEXT) | instid1(VALU_DEP_1)
	v_cmp_ge_f32_e64 s4, 0, v19
	v_cndmask_b32_e64 v16, v16, v17, s4
	s_delay_alu instid0(VALU_DEP_3) | instskip(NEXT) | instid1(VALU_DEP_1)
	v_cmp_lt_f32_e64 s4, 0, v20
	v_cndmask_b32_e64 v16, v16, v18, s4
	s_delay_alu instid0(VALU_DEP_1) | instskip(NEXT) | instid1(VALU_DEP_1)
	v_mul_f32_e32 v17, 0x37800000, v16
	v_cndmask_b32_e32 v16, v16, v17, vcc_lo
	v_cmp_class_f32_e64 vcc_lo, v14, 0x260
	s_delay_alu instid0(VALU_DEP_2) | instskip(SKIP_1) | instid1(VALU_DEP_2)
	v_cndmask_b32_e32 v14, v16, v14, vcc_lo
	v_cmp_le_f32_e32 vcc_lo, 0, v15
	v_cndmask_b32_e64 v14, v14, -v14, vcc_lo
	s_delay_alu instid0(VALU_DEP_1) | instskip(NEXT) | instid1(VALU_DEP_1)
	v_dual_sub_f32 v17, v14, v15 :: v_dual_sub_f32 v16, v15, v14
	v_div_scale_f32 v18, null, v14, v14, v17
	s_delay_alu instid0(VALU_DEP_2) | instskip(SKIP_1) | instid1(VALU_DEP_3)
	v_div_scale_f32 v15, null, v16, v16, 1.0
	v_div_scale_f32 v23, vcc_lo, 1.0, v16, 1.0
	v_rcp_f32_e32 v20, v18
	s_delay_alu instid0(VALU_DEP_2) | instskip(SKIP_3) | instid1(VALU_DEP_1)
	v_rcp_f32_e32 v19, v15
	s_waitcnt_depctr 0xfff
	v_fma_f32 v22, -v18, v20, 1.0
	v_fma_f32 v21, -v15, v19, 1.0
	v_dual_fmac_f32 v20, v22, v20 :: v_dual_fmac_f32 v19, v21, v19
	v_div_scale_f32 v21, s4, v17, v14, v17
	s_delay_alu instid0(VALU_DEP_2) | instskip(NEXT) | instid1(VALU_DEP_2)
	v_mul_f32_e32 v22, v23, v19
	v_mul_f32_e32 v24, v21, v20
	s_delay_alu instid0(VALU_DEP_2) | instskip(NEXT) | instid1(VALU_DEP_2)
	v_fma_f32 v25, -v15, v22, v23
	v_fma_f32 v26, -v18, v24, v21
	s_delay_alu instid0(VALU_DEP_2) | instskip(NEXT) | instid1(VALU_DEP_2)
	v_fmac_f32_e32 v22, v25, v19
	v_fmac_f32_e32 v24, v26, v20
	s_delay_alu instid0(VALU_DEP_2) | instskip(NEXT) | instid1(VALU_DEP_2)
	v_fma_f32 v15, -v15, v22, v23
	v_fma_f32 v18, -v18, v24, v21
	s_delay_alu instid0(VALU_DEP_2) | instskip(SKIP_2) | instid1(VALU_DEP_2)
	v_div_fmas_f32 v15, v15, v19, v22
	s_mov_b32 vcc_lo, s4
	s_and_b32 s4, s21, exec_lo
	v_div_fmas_f32 v18, v18, v20, v24
	s_delay_alu instid0(VALU_DEP_2) | instskip(NEXT) | instid1(VALU_DEP_2)
	v_div_fixup_f32 v15, v15, v16, 1.0
	v_div_fixup_f32 v16, v18, v14, v17
	v_mov_b32_e32 v17, s20
	ds_store_b32 v17, v16
	s_or_b32 exec_lo, exec_lo, s33
	s_and_saveexec_b32 s33, s31
	s_cbranch_execnz .LBB3_19
	s_branch .LBB3_20
.LBB3_42:
	s_and_saveexec_b32 s1, s0
	s_cbranch_execz .LBB3_48
; %bb.43:
	v_mul_lo_u32 v0, s12, v5
	v_mad_u64_u32 v[2:3], null, s16, v5, v[1:2]
	v_cmp_gt_i32_e32 vcc_lo, s13, v5
	s_lshl_b32 s2, s16, 1
	s_mov_b32 s3, 0
	s_lshl_b32 s4, s12, 3
	s_delay_alu instid0(VALU_DEP_3) | instskip(NEXT) | instid1(VALU_DEP_1)
	v_lshlrev_b32_e32 v0, 2, v0
	v_add3_u32 v0, v0, v6, 0
	s_set_inst_prefetch_distance 0x1
	s_branch .LBB3_45
	.p2align	6
.LBB3_44:                               ;   in Loop: Header=BB3_45 Depth=1
	s_or_b32 exec_lo, exec_lo, s6
	v_add_nc_u32_e32 v1, 0x80, v1
	v_add_nc_u32_e32 v2, 0x80, v2
	v_add_nc_u32_e32 v0, 0x200, v0
	s_delay_alu instid0(VALU_DEP_3) | instskip(NEXT) | instid1(VALU_DEP_1)
	v_cmp_le_i32_e64 s0, s12, v1
	s_or_b32 s3, s0, s3
	s_delay_alu instid0(SALU_CYCLE_1)
	s_and_not1_b32 exec_lo, exec_lo, s3
	s_cbranch_execz .LBB3_48
.LBB3_45:                               ; =>This Loop Header: Depth=1
                                        ;     Child Loop BB3_47 Depth 2
	s_and_saveexec_b32 s6, vcc_lo
	s_cbranch_execz .LBB3_44
; %bb.46:                               ;   in Loop: Header=BB3_45 Depth=1
	v_dual_mov_b32 v6, v0 :: v_dual_mov_b32 v3, v2
	v_mov_b32_e32 v7, v5
	s_mov_b32 s7, 0
	.p2align	6
.LBB3_47:                               ;   Parent Loop BB3_45 Depth=1
                                        ; =>  This Inner Loop Header: Depth=2
	ds_load_b32 v10, v6
	v_ashrrev_i32_e32 v4, 31, v3
	v_add_nc_u32_e32 v7, 2, v7
	v_add_nc_u32_e32 v6, s4, v6
	s_delay_alu instid0(VALU_DEP_3) | instskip(NEXT) | instid1(VALU_DEP_3)
	v_lshlrev_b64 v[8:9], 2, v[3:4]
	v_cmp_le_i32_e64 s0, s13, v7
	v_add_nc_u32_e32 v3, s2, v3
	s_delay_alu instid0(VALU_DEP_2) | instskip(NEXT) | instid1(VALU_DEP_3)
	s_or_b32 s7, s0, s7
	v_add_co_u32 v8, s1, s5, v8
	s_delay_alu instid0(VALU_DEP_1)
	v_add_co_ci_u32_e64 v9, s1, s14, v9, s1
	s_waitcnt lgkmcnt(0)
	global_store_b32 v[8:9], v10, off
	s_and_not1_b32 exec_lo, exec_lo, s7
	s_cbranch_execnz .LBB3_47
	s_branch .LBB3_44
.LBB3_48:
	s_set_inst_prefetch_distance 0x2
	s_nop 0
	s_sendmsg sendmsg(MSG_DEALLOC_VGPRS)
	s_endpgm
	.section	.rodata,"a",@progbits
	.p2align	6, 0x0
	.amdhsa_kernel _ZN9rocsolver6v33100L18geqr2_kernel_smallILi256EfifPfEEvT1_S3_T3_lS3_lPT2_lPT0_l
		.amdhsa_group_segment_fixed_size 0
		.amdhsa_private_segment_fixed_size 0
		.amdhsa_kernarg_size 72
		.amdhsa_user_sgpr_count 14
		.amdhsa_user_sgpr_dispatch_ptr 0
		.amdhsa_user_sgpr_queue_ptr 0
		.amdhsa_user_sgpr_kernarg_segment_ptr 1
		.amdhsa_user_sgpr_dispatch_id 0
		.amdhsa_user_sgpr_private_segment_size 0
		.amdhsa_wavefront_size32 1
		.amdhsa_uses_dynamic_stack 0
		.amdhsa_enable_private_segment 0
		.amdhsa_system_sgpr_workgroup_id_x 1
		.amdhsa_system_sgpr_workgroup_id_y 0
		.amdhsa_system_sgpr_workgroup_id_z 1
		.amdhsa_system_sgpr_workgroup_info 0
		.amdhsa_system_vgpr_workitem_id 0
		.amdhsa_next_free_vgpr 27
		.amdhsa_next_free_sgpr 36
		.amdhsa_reserve_vcc 1
		.amdhsa_float_round_mode_32 0
		.amdhsa_float_round_mode_16_64 0
		.amdhsa_float_denorm_mode_32 3
		.amdhsa_float_denorm_mode_16_64 3
		.amdhsa_dx10_clamp 1
		.amdhsa_ieee_mode 1
		.amdhsa_fp16_overflow 0
		.amdhsa_workgroup_processor_mode 1
		.amdhsa_memory_ordered 1
		.amdhsa_forward_progress 0
		.amdhsa_shared_vgpr_count 0
		.amdhsa_exception_fp_ieee_invalid_op 0
		.amdhsa_exception_fp_denorm_src 0
		.amdhsa_exception_fp_ieee_div_zero 0
		.amdhsa_exception_fp_ieee_overflow 0
		.amdhsa_exception_fp_ieee_underflow 0
		.amdhsa_exception_fp_ieee_inexact 0
		.amdhsa_exception_int_div_zero 0
	.end_amdhsa_kernel
	.section	.text._ZN9rocsolver6v33100L18geqr2_kernel_smallILi256EfifPfEEvT1_S3_T3_lS3_lPT2_lPT0_l,"axG",@progbits,_ZN9rocsolver6v33100L18geqr2_kernel_smallILi256EfifPfEEvT1_S3_T3_lS3_lPT2_lPT0_l,comdat
.Lfunc_end3:
	.size	_ZN9rocsolver6v33100L18geqr2_kernel_smallILi256EfifPfEEvT1_S3_T3_lS3_lPT2_lPT0_l, .Lfunc_end3-_ZN9rocsolver6v33100L18geqr2_kernel_smallILi256EfifPfEEvT1_S3_T3_lS3_lPT2_lPT0_l
                                        ; -- End function
	.section	.AMDGPU.csdata,"",@progbits
; Kernel info:
; codeLenInByte = 2624
; NumSgprs: 38
; NumVgprs: 27
; ScratchSize: 0
; MemoryBound: 0
; FloatMode: 240
; IeeeMode: 1
; LDSByteSize: 0 bytes/workgroup (compile time only)
; SGPRBlocks: 4
; VGPRBlocks: 3
; NumSGPRsForWavesPerEU: 38
; NumVGPRsForWavesPerEU: 27
; Occupancy: 16
; WaveLimiterHint : 0
; COMPUTE_PGM_RSRC2:SCRATCH_EN: 0
; COMPUTE_PGM_RSRC2:USER_SGPR: 14
; COMPUTE_PGM_RSRC2:TRAP_HANDLER: 0
; COMPUTE_PGM_RSRC2:TGID_X_EN: 1
; COMPUTE_PGM_RSRC2:TGID_Y_EN: 0
; COMPUTE_PGM_RSRC2:TGID_Z_EN: 1
; COMPUTE_PGM_RSRC2:TIDIG_COMP_CNT: 0
	.section	.text._ZN9rocsolver6v33100L16reset_batch_infoIfiiPfEEvT2_lT0_T1_,"axG",@progbits,_ZN9rocsolver6v33100L16reset_batch_infoIfiiPfEEvT2_lT0_T1_,comdat
	.globl	_ZN9rocsolver6v33100L16reset_batch_infoIfiiPfEEvT2_lT0_T1_ ; -- Begin function _ZN9rocsolver6v33100L16reset_batch_infoIfiiPfEEvT2_lT0_T1_
	.p2align	8
	.type	_ZN9rocsolver6v33100L16reset_batch_infoIfiiPfEEvT2_lT0_T1_,@function
_ZN9rocsolver6v33100L16reset_batch_infoIfiiPfEEvT2_lT0_T1_: ; @_ZN9rocsolver6v33100L16reset_batch_infoIfiiPfEEvT2_lT0_T1_
; %bb.0:
	s_clause 0x1
	s_load_b32 s4, s[0:1], 0x24
	s_load_b64 s[2:3], s[0:1], 0x10
	s_waitcnt lgkmcnt(0)
	s_and_b32 s4, s4, 0xffff
	s_delay_alu instid0(SALU_CYCLE_1) | instskip(NEXT) | instid1(VALU_DEP_1)
	v_mad_u64_u32 v[1:2], null, s14, s4, v[0:1]
	v_cmp_gt_i32_e32 vcc_lo, s2, v1
	s_and_saveexec_b32 s2, vcc_lo
	s_cbranch_execz .LBB4_2
; %bb.1:
	s_load_b128 s[4:7], s[0:1], 0x0
	v_ashrrev_i32_e32 v2, 31, v1
	s_ashr_i32 s0, s15, 31
	s_delay_alu instid0(VALU_DEP_1)
	v_lshlrev_b64 v[0:1], 2, v[1:2]
	v_cvt_f32_i32_e32 v2, s3
	s_waitcnt lgkmcnt(0)
	s_mul_i32 s1, s15, s7
	s_mul_hi_u32 s2, s15, s6
	s_mul_i32 s7, s0, s6
	s_add_i32 s1, s2, s1
	s_mul_i32 s0, s15, s6
	s_add_i32 s1, s1, s7
	s_delay_alu instid0(SALU_CYCLE_1) | instskip(NEXT) | instid1(SALU_CYCLE_1)
	s_lshl_b64 s[0:1], s[0:1], 2
	s_add_u32 s0, s4, s0
	s_addc_u32 s1, s5, s1
	v_add_co_u32 v0, vcc_lo, s0, v0
	v_add_co_ci_u32_e32 v1, vcc_lo, s1, v1, vcc_lo
	global_store_b32 v[0:1], v2, off
.LBB4_2:
	s_nop 0
	s_sendmsg sendmsg(MSG_DEALLOC_VGPRS)
	s_endpgm
	.section	.rodata,"a",@progbits
	.p2align	6, 0x0
	.amdhsa_kernel _ZN9rocsolver6v33100L16reset_batch_infoIfiiPfEEvT2_lT0_T1_
		.amdhsa_group_segment_fixed_size 0
		.amdhsa_private_segment_fixed_size 0
		.amdhsa_kernarg_size 280
		.amdhsa_user_sgpr_count 14
		.amdhsa_user_sgpr_dispatch_ptr 0
		.amdhsa_user_sgpr_queue_ptr 0
		.amdhsa_user_sgpr_kernarg_segment_ptr 1
		.amdhsa_user_sgpr_dispatch_id 0
		.amdhsa_user_sgpr_private_segment_size 0
		.amdhsa_wavefront_size32 1
		.amdhsa_uses_dynamic_stack 0
		.amdhsa_enable_private_segment 0
		.amdhsa_system_sgpr_workgroup_id_x 1
		.amdhsa_system_sgpr_workgroup_id_y 1
		.amdhsa_system_sgpr_workgroup_id_z 0
		.amdhsa_system_sgpr_workgroup_info 0
		.amdhsa_system_vgpr_workitem_id 0
		.amdhsa_next_free_vgpr 3
		.amdhsa_next_free_sgpr 16
		.amdhsa_reserve_vcc 1
		.amdhsa_float_round_mode_32 0
		.amdhsa_float_round_mode_16_64 0
		.amdhsa_float_denorm_mode_32 3
		.amdhsa_float_denorm_mode_16_64 3
		.amdhsa_dx10_clamp 1
		.amdhsa_ieee_mode 1
		.amdhsa_fp16_overflow 0
		.amdhsa_workgroup_processor_mode 1
		.amdhsa_memory_ordered 1
		.amdhsa_forward_progress 0
		.amdhsa_shared_vgpr_count 0
		.amdhsa_exception_fp_ieee_invalid_op 0
		.amdhsa_exception_fp_denorm_src 0
		.amdhsa_exception_fp_ieee_div_zero 0
		.amdhsa_exception_fp_ieee_overflow 0
		.amdhsa_exception_fp_ieee_underflow 0
		.amdhsa_exception_fp_ieee_inexact 0
		.amdhsa_exception_int_div_zero 0
	.end_amdhsa_kernel
	.section	.text._ZN9rocsolver6v33100L16reset_batch_infoIfiiPfEEvT2_lT0_T1_,"axG",@progbits,_ZN9rocsolver6v33100L16reset_batch_infoIfiiPfEEvT2_lT0_T1_,comdat
.Lfunc_end4:
	.size	_ZN9rocsolver6v33100L16reset_batch_infoIfiiPfEEvT2_lT0_T1_, .Lfunc_end4-_ZN9rocsolver6v33100L16reset_batch_infoIfiiPfEEvT2_lT0_T1_
                                        ; -- End function
	.section	.AMDGPU.csdata,"",@progbits
; Kernel info:
; codeLenInByte = 164
; NumSgprs: 18
; NumVgprs: 3
; ScratchSize: 0
; MemoryBound: 0
; FloatMode: 240
; IeeeMode: 1
; LDSByteSize: 0 bytes/workgroup (compile time only)
; SGPRBlocks: 2
; VGPRBlocks: 0
; NumSGPRsForWavesPerEU: 18
; NumVGPRsForWavesPerEU: 3
; Occupancy: 16
; WaveLimiterHint : 0
; COMPUTE_PGM_RSRC2:SCRATCH_EN: 0
; COMPUTE_PGM_RSRC2:USER_SGPR: 14
; COMPUTE_PGM_RSRC2:TRAP_HANDLER: 0
; COMPUTE_PGM_RSRC2:TGID_X_EN: 1
; COMPUTE_PGM_RSRC2:TGID_Y_EN: 1
; COMPUTE_PGM_RSRC2:TGID_Z_EN: 0
; COMPUTE_PGM_RSRC2:TIDIG_COMP_CNT: 0
	.section	.text._ZN9rocsolver6v33100L8set_diagIfifPfTnNSt9enable_ifIXoont18rocblas_is_complexIT_E18rocblas_is_complexIT1_EEiE4typeELi0EEEvPS5_llT2_lT0_lSA_b,"axG",@progbits,_ZN9rocsolver6v33100L8set_diagIfifPfTnNSt9enable_ifIXoont18rocblas_is_complexIT_E18rocblas_is_complexIT1_EEiE4typeELi0EEEvPS5_llT2_lT0_lSA_b,comdat
	.globl	_ZN9rocsolver6v33100L8set_diagIfifPfTnNSt9enable_ifIXoont18rocblas_is_complexIT_E18rocblas_is_complexIT1_EEiE4typeELi0EEEvPS5_llT2_lT0_lSA_b ; -- Begin function _ZN9rocsolver6v33100L8set_diagIfifPfTnNSt9enable_ifIXoont18rocblas_is_complexIT_E18rocblas_is_complexIT1_EEiE4typeELi0EEEvPS5_llT2_lT0_lSA_b
	.p2align	8
	.type	_ZN9rocsolver6v33100L8set_diagIfifPfTnNSt9enable_ifIXoont18rocblas_is_complexIT_E18rocblas_is_complexIT1_EEiE4typeELi0EEEvPS5_llT2_lT0_lSA_b,@function
_ZN9rocsolver6v33100L8set_diagIfifPfTnNSt9enable_ifIXoont18rocblas_is_complexIT_E18rocblas_is_complexIT1_EEiE4typeELi0EEEvPS5_llT2_lT0_lSA_b: ; @_ZN9rocsolver6v33100L8set_diagIfifPfTnNSt9enable_ifIXoont18rocblas_is_complexIT_E18rocblas_is_complexIT1_EEiE4typeELi0EEEvPS5_llT2_lT0_lSA_b
; %bb.0:
	s_clause 0x1
	s_load_b32 s4, s[0:1], 0x4c
	s_load_b64 s[2:3], s[0:1], 0x38
	v_bfe_u32 v2, v0, 10, 10
	s_waitcnt lgkmcnt(0)
	s_lshr_b32 s4, s4, 16
	s_delay_alu instid0(VALU_DEP_1) | instid1(SALU_CYCLE_1)
	v_mad_u64_u32 v[0:1], null, s15, s4, v[2:3]
	s_delay_alu instid0(VALU_DEP_1)
	v_cmp_gt_i32_e32 vcc_lo, s2, v0
	s_and_saveexec_b32 s2, vcc_lo
	s_cbranch_execz .LBB5_2
; %bb.1:
	s_clause 0x3
	s_load_b32 s2, s[0:1], 0x28
	s_load_b64 s[12:13], s[0:1], 0x30
	s_load_b256 s[4:11], s[0:1], 0x0
	s_load_b64 s[0:1], s[0:1], 0x20
	s_bitcmp1_b32 s3, 0
	s_cselect_b32 s15, -1, 0
	s_ashr_i32 s16, s14, 31
	s_waitcnt lgkmcnt(0)
	v_mad_u64_u32 v[1:2], null, v0, s2, v[0:1]
	s_mul_i32 s2, s14, s13
	s_mul_hi_u32 s3, s14, s12
	s_mul_i32 s13, s16, s12
	s_add_i32 s3, s3, s2
	s_mul_i32 s2, s14, s12
	s_add_i32 s3, s3, s13
	s_delay_alu instid0(VALU_DEP_1)
	v_ashrrev_i32_e32 v2, 31, v1
	s_lshl_b64 s[2:3], s[2:3], 2
	s_mul_i32 s16, s16, s8
	s_add_u32 s2, s10, s2
	s_addc_u32 s3, s11, s3
	v_lshlrev_b64 v[1:2], 2, v[1:2]
	s_lshl_b64 s[0:1], s[0:1], 2
	s_delay_alu instid0(SALU_CYCLE_1) | instskip(SKIP_1) | instid1(VALU_DEP_1)
	s_add_u32 s0, s2, s0
	s_addc_u32 s1, s3, s1
	v_add_co_u32 v3, vcc_lo, s0, v1
	s_delay_alu instid0(VALU_DEP_2)
	v_add_co_ci_u32_e32 v4, vcc_lo, s1, v2, vcc_lo
	s_mul_i32 s0, s14, s9
	s_mul_hi_u32 s1, s14, s8
	v_ashrrev_i32_e32 v1, 31, v0
	global_load_b32 v2, v[3:4], off
	s_add_i32 s0, s1, s0
	s_delay_alu instid0(SALU_CYCLE_1) | instskip(SKIP_3) | instid1(SALU_CYCLE_1)
	s_add_i32 s1, s0, s16
	s_mul_i32 s0, s14, s8
	v_lshlrev_b64 v[0:1], 2, v[0:1]
	s_lshl_b64 s[0:1], s[0:1], 2
	s_add_u32 s2, s4, s0
	s_addc_u32 s3, s5, s1
	s_lshl_b64 s[0:1], s[6:7], 2
	s_delay_alu instid0(SALU_CYCLE_1)
	s_add_u32 s0, s2, s0
	s_addc_u32 s1, s3, s1
	v_add_co_u32 v0, vcc_lo, s0, v0
	v_add_co_ci_u32_e32 v1, vcc_lo, s1, v1, vcc_lo
	s_waitcnt vmcnt(0)
	v_cndmask_b32_e64 v5, v2, 1.0, s15
	global_store_b32 v[0:1], v2, off
	global_store_b32 v[3:4], v5, off
.LBB5_2:
	s_nop 0
	s_sendmsg sendmsg(MSG_DEALLOC_VGPRS)
	s_endpgm
	.section	.rodata,"a",@progbits
	.p2align	6, 0x0
	.amdhsa_kernel _ZN9rocsolver6v33100L8set_diagIfifPfTnNSt9enable_ifIXoont18rocblas_is_complexIT_E18rocblas_is_complexIT1_EEiE4typeELi0EEEvPS5_llT2_lT0_lSA_b
		.amdhsa_group_segment_fixed_size 0
		.amdhsa_private_segment_fixed_size 0
		.amdhsa_kernarg_size 320
		.amdhsa_user_sgpr_count 14
		.amdhsa_user_sgpr_dispatch_ptr 0
		.amdhsa_user_sgpr_queue_ptr 0
		.amdhsa_user_sgpr_kernarg_segment_ptr 1
		.amdhsa_user_sgpr_dispatch_id 0
		.amdhsa_user_sgpr_private_segment_size 0
		.amdhsa_wavefront_size32 1
		.amdhsa_uses_dynamic_stack 0
		.amdhsa_enable_private_segment 0
		.amdhsa_system_sgpr_workgroup_id_x 1
		.amdhsa_system_sgpr_workgroup_id_y 1
		.amdhsa_system_sgpr_workgroup_id_z 0
		.amdhsa_system_sgpr_workgroup_info 0
		.amdhsa_system_vgpr_workitem_id 1
		.amdhsa_next_free_vgpr 6
		.amdhsa_next_free_sgpr 17
		.amdhsa_reserve_vcc 1
		.amdhsa_float_round_mode_32 0
		.amdhsa_float_round_mode_16_64 0
		.amdhsa_float_denorm_mode_32 3
		.amdhsa_float_denorm_mode_16_64 3
		.amdhsa_dx10_clamp 1
		.amdhsa_ieee_mode 1
		.amdhsa_fp16_overflow 0
		.amdhsa_workgroup_processor_mode 1
		.amdhsa_memory_ordered 1
		.amdhsa_forward_progress 0
		.amdhsa_shared_vgpr_count 0
		.amdhsa_exception_fp_ieee_invalid_op 0
		.amdhsa_exception_fp_denorm_src 0
		.amdhsa_exception_fp_ieee_div_zero 0
		.amdhsa_exception_fp_ieee_overflow 0
		.amdhsa_exception_fp_ieee_underflow 0
		.amdhsa_exception_fp_ieee_inexact 0
		.amdhsa_exception_int_div_zero 0
	.end_amdhsa_kernel
	.section	.text._ZN9rocsolver6v33100L8set_diagIfifPfTnNSt9enable_ifIXoont18rocblas_is_complexIT_E18rocblas_is_complexIT1_EEiE4typeELi0EEEvPS5_llT2_lT0_lSA_b,"axG",@progbits,_ZN9rocsolver6v33100L8set_diagIfifPfTnNSt9enable_ifIXoont18rocblas_is_complexIT_E18rocblas_is_complexIT1_EEiE4typeELi0EEEvPS5_llT2_lT0_lSA_b,comdat
.Lfunc_end5:
	.size	_ZN9rocsolver6v33100L8set_diagIfifPfTnNSt9enable_ifIXoont18rocblas_is_complexIT_E18rocblas_is_complexIT1_EEiE4typeELi0EEEvPS5_llT2_lT0_lSA_b, .Lfunc_end5-_ZN9rocsolver6v33100L8set_diagIfifPfTnNSt9enable_ifIXoont18rocblas_is_complexIT_E18rocblas_is_complexIT1_EEiE4typeELi0EEEvPS5_llT2_lT0_lSA_b
                                        ; -- End function
	.section	.AMDGPU.csdata,"",@progbits
; Kernel info:
; codeLenInByte = 336
; NumSgprs: 19
; NumVgprs: 6
; ScratchSize: 0
; MemoryBound: 0
; FloatMode: 240
; IeeeMode: 1
; LDSByteSize: 0 bytes/workgroup (compile time only)
; SGPRBlocks: 2
; VGPRBlocks: 0
; NumSGPRsForWavesPerEU: 19
; NumVGPRsForWavesPerEU: 6
; Occupancy: 16
; WaveLimiterHint : 0
; COMPUTE_PGM_RSRC2:SCRATCH_EN: 0
; COMPUTE_PGM_RSRC2:USER_SGPR: 14
; COMPUTE_PGM_RSRC2:TRAP_HANDLER: 0
; COMPUTE_PGM_RSRC2:TGID_X_EN: 1
; COMPUTE_PGM_RSRC2:TGID_Y_EN: 1
; COMPUTE_PGM_RSRC2:TGID_Z_EN: 0
; COMPUTE_PGM_RSRC2:TIDIG_COMP_CNT: 1
	.section	.text._ZN9rocsolver6v33100L11set_taubetaIfifPfEEvPT_lS4_T2_llPT1_ll,"axG",@progbits,_ZN9rocsolver6v33100L11set_taubetaIfifPfEEvPT_lS4_T2_llPT1_ll,comdat
	.globl	_ZN9rocsolver6v33100L11set_taubetaIfifPfEEvPT_lS4_T2_llPT1_ll ; -- Begin function _ZN9rocsolver6v33100L11set_taubetaIfifPfEEvPT_lS4_T2_llPT1_ll
	.p2align	8
	.type	_ZN9rocsolver6v33100L11set_taubetaIfifPfEEvPT_lS4_T2_llPT1_ll,@function
_ZN9rocsolver6v33100L11set_taubetaIfifPfEEvPT_lS4_T2_llPT1_ll: ; @_ZN9rocsolver6v33100L11set_taubetaIfifPfEEvPT_lS4_T2_llPT1_ll
; %bb.0:
	s_mov_b32 s20, s15
	s_load_b512 s[4:19], s[0:1], 0x0
	s_ashr_i32 s21, s20, 31
	s_mov_b64 s[2:3], 0
	s_waitcnt lgkmcnt(0)
	s_cmp_eq_u64 s[16:17], 0
	s_cbranch_scc1 .LBB6_2
; %bb.1:
	s_load_b64 s[0:1], s[0:1], 0x40
	s_waitcnt lgkmcnt(0)
	s_mul_i32 s1, s20, s1
	s_mul_hi_u32 s2, s20, s0
	s_mul_i32 s3, s21, s0
	s_add_i32 s1, s2, s1
	s_mul_i32 s0, s20, s0
	s_add_i32 s1, s1, s3
	s_delay_alu instid0(SALU_CYCLE_1) | instskip(NEXT) | instid1(SALU_CYCLE_1)
	s_lshl_b64 s[0:1], s[0:1], 2
	s_add_u32 s2, s16, s0
	s_addc_u32 s3, s17, s1
	s_lshl_b64 s[0:1], s[18:19], 2
	s_delay_alu instid0(SALU_CYCLE_1)
	s_add_u32 s2, s2, s0
	s_addc_u32 s3, s3, s1
.LBB6_2:
	s_mul_i32 s0, s20, s15
	s_mul_hi_u32 s1, s20, s14
	s_mul_i32 s15, s21, s14
	s_add_i32 s1, s1, s0
	s_mul_i32 s0, s20, s14
	s_add_i32 s1, s1, s15
	s_mul_i32 s7, s20, s7
	s_lshl_b64 s[0:1], s[0:1], 2
	s_delay_alu instid0(SALU_CYCLE_1) | instskip(SKIP_2) | instid1(SALU_CYCLE_1)
	s_add_u32 s10, s10, s0
	s_addc_u32 s11, s11, s1
	s_lshl_b64 s[0:1], s[12:13], 2
	s_add_u32 s10, s10, s0
	s_mul_hi_u32 s0, s20, s6
	s_addc_u32 s11, s11, s1
	s_add_i32 s0, s0, s7
	s_mul_i32 s1, s21, s6
	s_delay_alu instid0(SALU_CYCLE_1) | instskip(SKIP_1) | instid1(SALU_CYCLE_1)
	s_add_i32 s1, s0, s1
	s_mul_i32 s0, s20, s6
	s_lshl_b64 s[0:1], s[0:1], 2
	s_delay_alu instid0(SALU_CYCLE_1) | instskip(SKIP_2) | instid1(SALU_CYCLE_1)
	s_add_u32 s4, s4, s0
	s_addc_u32 s5, s5, s1
	s_lshl_b64 s[0:1], s[20:21], 2
	s_add_u32 s6, s8, s0
	s_addc_u32 s7, s9, s1
	s_cmp_eq_u64 s[2:3], 0
	s_load_b32 s9, s[6:7], 0x0
	s_cselect_b32 s1, -1, 0
	s_cmp_lg_u64 s[2:3], 0
	s_cselect_b32 s8, -1, 0
	s_waitcnt lgkmcnt(0)
	v_cmp_ngt_f32_e64 s0, s9, 0
	s_delay_alu instid0(VALU_DEP_1)
	s_and_b32 vcc_lo, exec_lo, s0
	s_mov_b32 s0, 0
	s_cbranch_vccz .LBB6_5
; %bb.3:
	v_dual_mov_b32 v1, 1.0 :: v_dual_mov_b32 v0, 0
	s_mov_b32 s13, 0
	s_and_b32 vcc_lo, exec_lo, s8
	s_clause 0x1
	global_store_b32 v0, v1, s[6:7]
	global_store_b32 v0, v0, s[4:5]
	s_cbranch_vccz .LBB6_6
; %bb.4:
	global_load_b32 v0, v0, s[10:11]
	s_mov_b32 s12, -1
	s_and_b32 vcc_lo, exec_lo, s13
	s_cbranch_vccnz .LBB6_7
	s_branch .LBB6_8
.LBB6_5:
	s_mov_b32 s13, -1
.LBB6_6:
	s_mov_b32 s12, 0
                                        ; implicit-def: $vgpr0
	s_and_b32 vcc_lo, exec_lo, s13
	s_cbranch_vccz .LBB6_8
.LBB6_7:
	s_load_b32 s12, s[10:11], 0x0
	s_waitcnt vmcnt(0) lgkmcnt(0)
	v_fma_f32 v0, s12, s12, s9
	s_delay_alu instid0(VALU_DEP_1) | instskip(SKIP_1) | instid1(VALU_DEP_2)
	v_mul_f32_e32 v1, 0x4f800000, v0
	v_cmp_gt_f32_e32 vcc_lo, 0xf800000, v0
	v_cndmask_b32_e32 v0, v0, v1, vcc_lo
	s_delay_alu instid0(VALU_DEP_1) | instskip(SKIP_3) | instid1(VALU_DEP_2)
	v_sqrt_f32_e32 v1, v0
	s_waitcnt_depctr 0xfff
	v_add_nc_u32_e32 v2, -1, v1
	v_add_nc_u32_e32 v3, 1, v1
	v_fma_f32 v4, -v2, v1, v0
	s_delay_alu instid0(VALU_DEP_2) | instskip(NEXT) | instid1(VALU_DEP_2)
	v_fma_f32 v5, -v3, v1, v0
	v_cmp_ge_f32_e64 s0, 0, v4
	s_delay_alu instid0(VALU_DEP_1) | instskip(NEXT) | instid1(VALU_DEP_3)
	v_cndmask_b32_e64 v1, v1, v2, s0
	v_cmp_lt_f32_e64 s0, 0, v5
	s_delay_alu instid0(VALU_DEP_1) | instskip(SKIP_1) | instid1(VALU_DEP_2)
	v_cndmask_b32_e64 v1, v1, v3, s0
	v_cmp_ge_f32_e64 s0, s12, 0
	v_mul_f32_e32 v2, 0x37800000, v1
	s_delay_alu instid0(VALU_DEP_1) | instskip(SKIP_1) | instid1(VALU_DEP_2)
	v_cndmask_b32_e32 v1, v1, v2, vcc_lo
	v_cmp_class_f32_e64 vcc_lo, v0, 0x260
	v_cndmask_b32_e32 v0, v1, v0, vcc_lo
	s_delay_alu instid0(VALU_DEP_1) | instskip(SKIP_1) | instid1(VALU_DEP_1)
	v_cndmask_b32_e64 v0, v0, -v0, s0
	s_mov_b32 s0, s1
	v_sub_f32_e32 v1, s12, v0
	s_mov_b32 s12, s8
	s_delay_alu instid0(VALU_DEP_1) | instskip(SKIP_1) | instid1(VALU_DEP_2)
	v_div_scale_f32 v2, null, v1, v1, 1.0
	v_div_scale_f32 v5, vcc_lo, 1.0, v1, 1.0
	v_rcp_f32_e32 v3, v2
	s_waitcnt_depctr 0xfff
	v_fma_f32 v4, -v2, v3, 1.0
	s_delay_alu instid0(VALU_DEP_1) | instskip(NEXT) | instid1(VALU_DEP_1)
	v_fmac_f32_e32 v3, v4, v3
	v_mul_f32_e32 v4, v5, v3
	s_delay_alu instid0(VALU_DEP_1) | instskip(NEXT) | instid1(VALU_DEP_1)
	v_fma_f32 v6, -v2, v4, v5
	v_fmac_f32_e32 v4, v6, v3
	s_delay_alu instid0(VALU_DEP_1) | instskip(NEXT) | instid1(VALU_DEP_1)
	v_fma_f32 v2, -v2, v4, v5
	v_div_fmas_f32 v2, v2, v3, v4
	v_mov_b32_e32 v3, 0
	s_delay_alu instid0(VALU_DEP_2) | instskip(SKIP_4) | instid1(VALU_DEP_1)
	v_div_fixup_f32 v1, v2, v1, 1.0
	global_store_b32 v3, v1, s[6:7]
	global_load_b32 v1, v3, s[10:11]
	s_waitcnt vmcnt(0)
	v_sub_f32_e32 v1, v0, v1
	v_div_scale_f32 v2, null, v0, v0, v1
	s_delay_alu instid0(VALU_DEP_1) | instskip(SKIP_2) | instid1(VALU_DEP_1)
	v_rcp_f32_e32 v4, v2
	s_waitcnt_depctr 0xfff
	v_fma_f32 v5, -v2, v4, 1.0
	v_fmac_f32_e32 v4, v5, v4
	v_div_scale_f32 v5, vcc_lo, v1, v0, v1
	s_delay_alu instid0(VALU_DEP_1) | instskip(NEXT) | instid1(VALU_DEP_1)
	v_mul_f32_e32 v6, v5, v4
	v_fma_f32 v7, -v2, v6, v5
	s_delay_alu instid0(VALU_DEP_1) | instskip(NEXT) | instid1(VALU_DEP_1)
	v_fmac_f32_e32 v6, v7, v4
	v_fma_f32 v2, -v2, v6, v5
	s_delay_alu instid0(VALU_DEP_1) | instskip(NEXT) | instid1(VALU_DEP_1)
	v_div_fmas_f32 v2, v2, v4, v6
	v_div_fixup_f32 v1, v2, v0, v1
	global_store_b32 v3, v1, s[4:5]
.LBB6_8:
	s_and_not1_b32 vcc_lo, exec_lo, s12
	s_cbranch_vccz .LBB6_11
; %bb.9:
	s_and_not1_b32 vcc_lo, exec_lo, s0
	s_cbranch_vccz .LBB6_12
; %bb.10:
	s_endpgm
.LBB6_11:
	v_dual_mov_b32 v1, s2 :: v_dual_mov_b32 v2, s3
	s_waitcnt vmcnt(0)
	flat_store_b32 v[1:2], v0
	v_mov_b32_e32 v0, 1.0
.LBB6_12:
	v_mov_b32_e32 v1, 0
	s_waitcnt vmcnt(0) lgkmcnt(0)
	global_store_b32 v1, v0, s[10:11]
	s_endpgm
	.section	.rodata,"a",@progbits
	.p2align	6, 0x0
	.amdhsa_kernel _ZN9rocsolver6v33100L11set_taubetaIfifPfEEvPT_lS4_T2_llPT1_ll
		.amdhsa_group_segment_fixed_size 0
		.amdhsa_private_segment_fixed_size 0
		.amdhsa_kernarg_size 72
		.amdhsa_user_sgpr_count 15
		.amdhsa_user_sgpr_dispatch_ptr 0
		.amdhsa_user_sgpr_queue_ptr 0
		.amdhsa_user_sgpr_kernarg_segment_ptr 1
		.amdhsa_user_sgpr_dispatch_id 0
		.amdhsa_user_sgpr_private_segment_size 0
		.amdhsa_wavefront_size32 1
		.amdhsa_uses_dynamic_stack 0
		.amdhsa_enable_private_segment 0
		.amdhsa_system_sgpr_workgroup_id_x 1
		.amdhsa_system_sgpr_workgroup_id_y 0
		.amdhsa_system_sgpr_workgroup_id_z 0
		.amdhsa_system_sgpr_workgroup_info 0
		.amdhsa_system_vgpr_workitem_id 0
		.amdhsa_next_free_vgpr 8
		.amdhsa_next_free_sgpr 22
		.amdhsa_reserve_vcc 1
		.amdhsa_float_round_mode_32 0
		.amdhsa_float_round_mode_16_64 0
		.amdhsa_float_denorm_mode_32 3
		.amdhsa_float_denorm_mode_16_64 3
		.amdhsa_dx10_clamp 1
		.amdhsa_ieee_mode 1
		.amdhsa_fp16_overflow 0
		.amdhsa_workgroup_processor_mode 1
		.amdhsa_memory_ordered 1
		.amdhsa_forward_progress 0
		.amdhsa_shared_vgpr_count 0
		.amdhsa_exception_fp_ieee_invalid_op 0
		.amdhsa_exception_fp_denorm_src 0
		.amdhsa_exception_fp_ieee_div_zero 0
		.amdhsa_exception_fp_ieee_overflow 0
		.amdhsa_exception_fp_ieee_underflow 0
		.amdhsa_exception_fp_ieee_inexact 0
		.amdhsa_exception_int_div_zero 0
	.end_amdhsa_kernel
	.section	.text._ZN9rocsolver6v33100L11set_taubetaIfifPfEEvPT_lS4_T2_llPT1_ll,"axG",@progbits,_ZN9rocsolver6v33100L11set_taubetaIfifPfEEvPT_lS4_T2_llPT1_ll,comdat
.Lfunc_end6:
	.size	_ZN9rocsolver6v33100L11set_taubetaIfifPfEEvPT_lS4_T2_llPT1_ll, .Lfunc_end6-_ZN9rocsolver6v33100L11set_taubetaIfifPfEEvPT_lS4_T2_llPT1_ll
                                        ; -- End function
	.section	.AMDGPU.csdata,"",@progbits
; Kernel info:
; codeLenInByte = 816
; NumSgprs: 24
; NumVgprs: 8
; ScratchSize: 0
; MemoryBound: 0
; FloatMode: 240
; IeeeMode: 1
; LDSByteSize: 0 bytes/workgroup (compile time only)
; SGPRBlocks: 2
; VGPRBlocks: 0
; NumSGPRsForWavesPerEU: 24
; NumVGPRsForWavesPerEU: 8
; Occupancy: 16
; WaveLimiterHint : 0
; COMPUTE_PGM_RSRC2:SCRATCH_EN: 0
; COMPUTE_PGM_RSRC2:USER_SGPR: 15
; COMPUTE_PGM_RSRC2:TRAP_HANDLER: 0
; COMPUTE_PGM_RSRC2:TGID_X_EN: 1
; COMPUTE_PGM_RSRC2:TGID_Y_EN: 0
; COMPUTE_PGM_RSRC2:TGID_Z_EN: 0
; COMPUTE_PGM_RSRC2:TIDIG_COMP_CNT: 0
	.section	.text._ZN9rocsolver6v33100L13conj_in_placeIfiPfTnNSt9enable_ifIXnt18rocblas_is_complexIT_EEiE4typeELi0EEEvT0_S7_T1_lS7_l,"axG",@progbits,_ZN9rocsolver6v33100L13conj_in_placeIfiPfTnNSt9enable_ifIXnt18rocblas_is_complexIT_EEiE4typeELi0EEEvT0_S7_T1_lS7_l,comdat
	.globl	_ZN9rocsolver6v33100L13conj_in_placeIfiPfTnNSt9enable_ifIXnt18rocblas_is_complexIT_EEiE4typeELi0EEEvT0_S7_T1_lS7_l ; -- Begin function _ZN9rocsolver6v33100L13conj_in_placeIfiPfTnNSt9enable_ifIXnt18rocblas_is_complexIT_EEiE4typeELi0EEEvT0_S7_T1_lS7_l
	.p2align	8
	.type	_ZN9rocsolver6v33100L13conj_in_placeIfiPfTnNSt9enable_ifIXnt18rocblas_is_complexIT_EEiE4typeELi0EEEvT0_S7_T1_lS7_l,@function
_ZN9rocsolver6v33100L13conj_in_placeIfiPfTnNSt9enable_ifIXnt18rocblas_is_complexIT_EEiE4typeELi0EEEvT0_S7_T1_lS7_l: ; @_ZN9rocsolver6v33100L13conj_in_placeIfiPfTnNSt9enable_ifIXnt18rocblas_is_complexIT_EEiE4typeELi0EEEvT0_S7_T1_lS7_l
; %bb.0:
	s_endpgm
	.section	.rodata,"a",@progbits
	.p2align	6, 0x0
	.amdhsa_kernel _ZN9rocsolver6v33100L13conj_in_placeIfiPfTnNSt9enable_ifIXnt18rocblas_is_complexIT_EEiE4typeELi0EEEvT0_S7_T1_lS7_l
		.amdhsa_group_segment_fixed_size 0
		.amdhsa_private_segment_fixed_size 0
		.amdhsa_kernarg_size 40
		.amdhsa_user_sgpr_count 15
		.amdhsa_user_sgpr_dispatch_ptr 0
		.amdhsa_user_sgpr_queue_ptr 0
		.amdhsa_user_sgpr_kernarg_segment_ptr 1
		.amdhsa_user_sgpr_dispatch_id 0
		.amdhsa_user_sgpr_private_segment_size 0
		.amdhsa_wavefront_size32 1
		.amdhsa_uses_dynamic_stack 0
		.amdhsa_enable_private_segment 0
		.amdhsa_system_sgpr_workgroup_id_x 1
		.amdhsa_system_sgpr_workgroup_id_y 0
		.amdhsa_system_sgpr_workgroup_id_z 0
		.amdhsa_system_sgpr_workgroup_info 0
		.amdhsa_system_vgpr_workitem_id 0
		.amdhsa_next_free_vgpr 1
		.amdhsa_next_free_sgpr 1
		.amdhsa_reserve_vcc 0
		.amdhsa_float_round_mode_32 0
		.amdhsa_float_round_mode_16_64 0
		.amdhsa_float_denorm_mode_32 3
		.amdhsa_float_denorm_mode_16_64 3
		.amdhsa_dx10_clamp 1
		.amdhsa_ieee_mode 1
		.amdhsa_fp16_overflow 0
		.amdhsa_workgroup_processor_mode 1
		.amdhsa_memory_ordered 1
		.amdhsa_forward_progress 0
		.amdhsa_shared_vgpr_count 0
		.amdhsa_exception_fp_ieee_invalid_op 0
		.amdhsa_exception_fp_denorm_src 0
		.amdhsa_exception_fp_ieee_div_zero 0
		.amdhsa_exception_fp_ieee_overflow 0
		.amdhsa_exception_fp_ieee_underflow 0
		.amdhsa_exception_fp_ieee_inexact 0
		.amdhsa_exception_int_div_zero 0
	.end_amdhsa_kernel
	.section	.text._ZN9rocsolver6v33100L13conj_in_placeIfiPfTnNSt9enable_ifIXnt18rocblas_is_complexIT_EEiE4typeELi0EEEvT0_S7_T1_lS7_l,"axG",@progbits,_ZN9rocsolver6v33100L13conj_in_placeIfiPfTnNSt9enable_ifIXnt18rocblas_is_complexIT_EEiE4typeELi0EEEvT0_S7_T1_lS7_l,comdat
.Lfunc_end7:
	.size	_ZN9rocsolver6v33100L13conj_in_placeIfiPfTnNSt9enable_ifIXnt18rocblas_is_complexIT_EEiE4typeELi0EEEvT0_S7_T1_lS7_l, .Lfunc_end7-_ZN9rocsolver6v33100L13conj_in_placeIfiPfTnNSt9enable_ifIXnt18rocblas_is_complexIT_EEiE4typeELi0EEEvT0_S7_T1_lS7_l
                                        ; -- End function
	.section	.AMDGPU.csdata,"",@progbits
; Kernel info:
; codeLenInByte = 4
; NumSgprs: 0
; NumVgprs: 0
; ScratchSize: 0
; MemoryBound: 0
; FloatMode: 240
; IeeeMode: 1
; LDSByteSize: 0 bytes/workgroup (compile time only)
; SGPRBlocks: 0
; VGPRBlocks: 0
; NumSGPRsForWavesPerEU: 1
; NumVGPRsForWavesPerEU: 1
; Occupancy: 16
; WaveLimiterHint : 0
; COMPUTE_PGM_RSRC2:SCRATCH_EN: 0
; COMPUTE_PGM_RSRC2:USER_SGPR: 15
; COMPUTE_PGM_RSRC2:TRAP_HANDLER: 0
; COMPUTE_PGM_RSRC2:TGID_X_EN: 1
; COMPUTE_PGM_RSRC2:TGID_Y_EN: 0
; COMPUTE_PGM_RSRC2:TGID_Z_EN: 0
; COMPUTE_PGM_RSRC2:TIDIG_COMP_CNT: 0
	.section	.text._ZN9rocsolver6v33100L16larf_left_kernelILi1024EfiPfEEvT1_S3_T2_lS3_lPKT0_lS4_lS3_l,"axG",@progbits,_ZN9rocsolver6v33100L16larf_left_kernelILi1024EfiPfEEvT1_S3_T2_lS3_lPKT0_lS4_lS3_l,comdat
	.globl	_ZN9rocsolver6v33100L16larf_left_kernelILi1024EfiPfEEvT1_S3_T2_lS3_lPKT0_lS4_lS3_l ; -- Begin function _ZN9rocsolver6v33100L16larf_left_kernelILi1024EfiPfEEvT1_S3_T2_lS3_lPKT0_lS4_lS3_l
	.p2align	8
	.type	_ZN9rocsolver6v33100L16larf_left_kernelILi1024EfiPfEEvT1_S3_T2_lS3_lPKT0_lS4_lS3_l,@function
_ZN9rocsolver6v33100L16larf_left_kernelILi1024EfiPfEEvT1_S3_T2_lS3_lPKT0_lS4_lS3_l: ; @_ZN9rocsolver6v33100L16larf_left_kernelILi1024EfiPfEEvT1_S3_T2_lS3_lPKT0_lS4_lS3_l
; %bb.0:
	s_clause 0x4
	s_load_b32 s20, s[0:1], 0x0
	s_load_b64 s[2:3], s[0:1], 0x50
	s_load_b32 s17, s[0:1], 0x48
	s_load_b64 s[12:13], s[0:1], 0x40
	s_load_b256 s[4:11], s[0:1], 0x20
	v_mov_b32_e32 v5, 0
	v_lshlrev_b32_e32 v3, 2, v0
	s_ashr_i32 s24, s15, 31
	s_waitcnt lgkmcnt(0)
	v_cmp_gt_i32_e32 vcc_lo, s20, v0
	s_mul_i32 s21, s2, s24
	s_mul_hi_u32 s22, s2, s15
	s_mul_i32 s23, s3, s15
	s_mul_i32 s16, s2, s15
	s_mul_hi_i32 s19, s14, s17
	s_mul_i32 s18, s14, s17
	s_and_saveexec_b32 s14, vcc_lo
	s_cbranch_execz .LBB8_6
; %bb.1:
	s_clause 0x1
	s_load_b32 s26, s[0:1], 0x18
	s_load_b128 s[0:3], s[0:1], 0x8
	s_sub_i32 s17, 1, s20
	s_mul_i32 s25, s4, s24
	s_mul_hi_u32 s29, s4, s15
	s_mul_i32 s5, s5, s15
	s_mul_i32 s4, s4, s15
	v_add3_u32 v4, v3, 0, 0x80
	v_mov_b32_e32 v6, v0
	s_delay_alu instid0(VALU_DEP_2)
	v_mov_b32_e32 v5, v4
	s_waitcnt lgkmcnt(0)
	s_ashr_i32 s27, s26, 31
	v_mad_i64_i32 v[1:2], null, s26, v0, 0
	v_cmp_lt_i64_e64 s28, s[26:27], 1
	s_mul_i32 s17, s17, s26
	s_delay_alu instid0(VALU_DEP_1)
	s_and_b32 s28, s28, exec_lo
	s_cselect_b32 s28, s17, 0
	s_add_i32 s17, s29, s25
	s_ashr_i32 s29, s28, 31
	s_add_i32 s5, s17, s5
	s_lshl_b64 s[28:29], s[28:29], 2
	s_lshl_b64 s[2:3], s[2:3], 2
	;; [unrolled: 1-line block ×3, first 2 shown]
	v_lshlrev_b64 v[1:2], 2, v[1:2]
	s_add_u32 s0, s0, s28
	s_addc_u32 s1, s1, s29
	s_add_u32 s0, s0, s2
	s_addc_u32 s1, s1, s3
	;; [unrolled: 2-line block ×3, first 2 shown]
	v_add_co_u32 v1, s0, s0, v1
	s_delay_alu instid0(VALU_DEP_1)
	v_add_co_ci_u32_e64 v2, s0, s1, v2, s0
	s_mov_b32 s4, 0
	s_lshl_b64 s[2:3], s[26:27], 12
	.p2align	6
.LBB8_2:                                ; =>This Inner Loop Header: Depth=1
	global_load_b32 v7, v[1:2], off
	v_add_nc_u32_e32 v6, 0x400, v6
	v_add_co_u32 v1, s0, v1, s2
	s_delay_alu instid0(VALU_DEP_1) | instskip(NEXT) | instid1(VALU_DEP_3)
	v_add_co_ci_u32_e64 v2, s0, s3, v2, s0
	v_cmp_le_i32_e64 s1, s20, v6
	s_delay_alu instid0(VALU_DEP_1)
	s_or_b32 s4, s1, s4
	s_waitcnt vmcnt(0)
	ds_store_b32 v5, v7
	v_add_nc_u32_e32 v5, 0x1000, v5
	s_and_not1_b32 exec_lo, exec_lo, s4
	s_cbranch_execnz .LBB8_2
; %bb.3:
	s_or_b32 exec_lo, exec_lo, s4
	s_add_i32 s0, s22, s21
	v_dual_mov_b32 v6, v0 :: v_dual_lshlrev_b32 v1, 2, v0
	s_add_i32 s17, s0, s23
	s_lshl_b64 s[0:1], s[18:19], 2
	s_lshl_b64 s[2:3], s[16:17], 2
	v_mov_b32_e32 v5, 0
	s_add_u32 s2, s2, s0
	s_addc_u32 s3, s3, s1
	s_lshl_b64 s[0:1], s[12:13], 2
	s_delay_alu instid0(SALU_CYCLE_1) | instskip(SKIP_4) | instid1(VALU_DEP_1)
	s_add_u32 s0, s2, s0
	s_addc_u32 s1, s3, s1
	s_add_u32 s0, s10, s0
	s_addc_u32 s1, s11, s1
	v_add_co_u32 v1, s0, s0, v1
	v_add_co_ci_u32_e64 v2, null, s1, 0, s0
	s_mov_b32 s2, 0
	.p2align	6
.LBB8_4:                                ; =>This Inner Loop Header: Depth=1
	global_load_b32 v7, v[1:2], off
	ds_load_b32 v8, v4
	v_add_nc_u32_e32 v6, 0x400, v6
	v_add_co_u32 v1, s0, 0x1000, v1
	s_delay_alu instid0(VALU_DEP_1) | instskip(SKIP_3) | instid1(VALU_DEP_2)
	v_add_co_ci_u32_e64 v2, s0, 0, v2, s0
	s_waitcnt vmcnt(0) lgkmcnt(0)
	v_mul_f32_e32 v7, v7, v8
	v_cmp_le_i32_e64 s1, s20, v6
	v_dual_add_f32 v5, v5, v7 :: v_dual_add_nc_u32 v4, 0x1000, v4
	s_delay_alu instid0(VALU_DEP_2) | instskip(NEXT) | instid1(SALU_CYCLE_1)
	s_or_b32 s2, s1, s2
	s_and_not1_b32 exec_lo, exec_lo, s2
	s_cbranch_execnz .LBB8_4
; %bb.5:
	s_or_b32 exec_lo, exec_lo, s2
.LBB8_6:
	s_delay_alu instid0(SALU_CYCLE_1) | instskip(SKIP_2) | instid1(VALU_DEP_1)
	s_or_b32 exec_lo, exec_lo, s14
	v_mbcnt_lo_u32_b32 v1, -1, 0
	s_mov_b32 s1, exec_lo
	v_cmp_ne_u32_e64 s0, 31, v1
	s_delay_alu instid0(VALU_DEP_1) | instskip(SKIP_1) | instid1(VALU_DEP_2)
	v_add_co_ci_u32_e64 v2, s0, 0, v1, s0
	v_cmp_gt_u32_e64 s0, 30, v1
	v_lshlrev_b32_e32 v2, 2, v2
	s_delay_alu instid0(VALU_DEP_2) | instskip(SKIP_3) | instid1(VALU_DEP_1)
	v_cndmask_b32_e64 v4, 0, 1, s0
	v_cmp_gt_u32_e64 s0, 28, v1
	ds_bpermute_b32 v2, v2, v5
	v_lshlrev_b32_e32 v4, 1, v4
	v_add_lshl_u32 v4, v4, v1, 2
	s_waitcnt lgkmcnt(0)
	v_add_f32_e32 v2, v5, v2
	v_cndmask_b32_e64 v5, 0, 1, s0
	v_cmp_gt_u32_e64 s0, 24, v1
	s_delay_alu instid0(VALU_DEP_2)
	v_lshlrev_b32_e32 v5, 2, v5
	ds_bpermute_b32 v4, v4, v2
	v_add_lshl_u32 v5, v5, v1, 2
	s_waitcnt lgkmcnt(0)
	v_add_f32_e32 v2, v2, v4
	ds_bpermute_b32 v4, v5, v2
	v_cndmask_b32_e64 v5, 0, 1, s0
	v_cmp_gt_u32_e64 s0, 16, v1
	s_delay_alu instid0(VALU_DEP_2) | instskip(NEXT) | instid1(VALU_DEP_1)
	v_lshlrev_b32_e32 v5, 3, v5
	v_add_lshl_u32 v5, v5, v1, 2
	s_waitcnt lgkmcnt(0)
	v_add_f32_e32 v2, v2, v4
	ds_bpermute_b32 v4, v5, v2
	v_cndmask_b32_e64 v5, 0, 1, s0
	s_delay_alu instid0(VALU_DEP_1) | instskip(NEXT) | instid1(VALU_DEP_1)
	v_lshlrev_b32_e32 v5, 4, v5
	v_add_lshl_u32 v1, v5, v1, 2
	s_waitcnt lgkmcnt(0)
	v_add_f32_e32 v2, v2, v4
	v_and_b32_e32 v4, 31, v0
	ds_bpermute_b32 v1, v1, v2
	s_waitcnt lgkmcnt(0)
	v_add_f32_e32 v1, v2, v1
	v_cmpx_eq_u32_e32 0, v4
	s_cbranch_execz .LBB8_8
; %bb.7:
	v_lshrrev_b32_e32 v2, 3, v0
	s_delay_alu instid0(VALU_DEP_1)
	v_add_nc_u32_e32 v2, 0, v2
	ds_store_b32 v2, v1
.LBB8_8:
	s_or_b32 exec_lo, exec_lo, s1
	s_delay_alu instid0(SALU_CYCLE_1)
	s_mov_b32 s1, exec_lo
	s_waitcnt lgkmcnt(0)
	s_barrier
	buffer_gl0_inv
	v_cmpx_eq_u32_e32 0, v0
	s_cbranch_execz .LBB8_10
; %bb.9:
	v_mov_b32_e32 v12, 0
	ds_load_2addr_b32 v[4:5], v12 offset0:1 offset1:2
	ds_load_2addr_b32 v[6:7], v12 offset0:3 offset1:4
	;; [unrolled: 1-line block ×4, first 2 shown]
	s_waitcnt lgkmcnt(3)
	v_add_f32_e32 v1, v1, v4
	s_delay_alu instid0(VALU_DEP_1) | instskip(SKIP_1) | instid1(VALU_DEP_1)
	v_add_f32_e32 v1, v1, v5
	s_waitcnt lgkmcnt(2)
	v_add_f32_e32 v1, v1, v6
	s_delay_alu instid0(VALU_DEP_1) | instskip(SKIP_1) | instid1(VALU_DEP_1)
	v_add_f32_e32 v1, v1, v7
	s_waitcnt lgkmcnt(1)
	v_add_f32_e32 v4, v1, v8
	ds_load_2addr_b32 v[1:2], v12 offset0:9 offset1:10
	v_add_f32_e32 v4, v4, v9
	s_waitcnt lgkmcnt(1)
	s_delay_alu instid0(VALU_DEP_1)
	v_add_f32_e32 v6, v4, v10
	ds_load_2addr_b32 v[4:5], v12 offset0:11 offset1:12
	v_add_f32_e32 v10, v6, v11
	ds_load_2addr_b32 v[6:7], v12 offset0:13 offset1:14
	ds_load_2addr_b32 v[8:9], v12 offset0:15 offset1:16
	s_waitcnt lgkmcnt(3)
	v_add_f32_e32 v1, v10, v1
	s_delay_alu instid0(VALU_DEP_1) | instskip(SKIP_1) | instid1(VALU_DEP_1)
	v_add_f32_e32 v1, v1, v2
	s_waitcnt lgkmcnt(2)
	v_add_f32_e32 v1, v1, v4
	s_delay_alu instid0(VALU_DEP_1) | instskip(SKIP_1) | instid1(VALU_DEP_1)
	v_add_f32_e32 v1, v1, v5
	s_waitcnt lgkmcnt(1)
	v_add_f32_e32 v4, v1, v6
	ds_load_2addr_b32 v[1:2], v12 offset0:17 offset1:18
	v_add_f32_e32 v4, v4, v7
	s_waitcnt lgkmcnt(1)
	s_delay_alu instid0(VALU_DEP_1)
	v_add_f32_e32 v6, v4, v8
	ds_load_2addr_b32 v[4:5], v12 offset0:19 offset1:20
	v_add_f32_e32 v10, v6, v9
	ds_load_2addr_b32 v[6:7], v12 offset0:21 offset1:22
	ds_load_2addr_b32 v[8:9], v12 offset0:23 offset1:24
	s_waitcnt lgkmcnt(3)
	v_add_f32_e32 v1, v10, v1
	s_delay_alu instid0(VALU_DEP_1) | instskip(SKIP_1) | instid1(VALU_DEP_1)
	v_add_f32_e32 v1, v1, v2
	s_waitcnt lgkmcnt(2)
	v_add_f32_e32 v1, v1, v4
	s_delay_alu instid0(VALU_DEP_1) | instskip(SKIP_1) | instid1(VALU_DEP_1)
	v_add_f32_e32 v1, v1, v5
	s_waitcnt lgkmcnt(1)
	v_add_f32_e32 v4, v1, v6
	ds_load_2addr_b32 v[1:2], v12 offset0:25 offset1:26
	v_add_f32_e32 v4, v4, v7
	s_waitcnt lgkmcnt(1)
	s_delay_alu instid0(VALU_DEP_1)
	v_add_f32_e32 v6, v4, v8
	ds_load_2addr_b32 v[4:5], v12 offset0:27 offset1:28
	v_add_f32_e32 v8, v6, v9
	ds_load_2addr_b32 v[6:7], v12 offset0:29 offset1:30
	ds_load_b32 v9, v12 offset:124
	s_waitcnt lgkmcnt(3)
	v_add_f32_e32 v1, v8, v1
	s_delay_alu instid0(VALU_DEP_1) | instskip(SKIP_1) | instid1(VALU_DEP_1)
	v_add_f32_e32 v1, v1, v2
	s_waitcnt lgkmcnt(2)
	v_add_f32_e32 v1, v1, v4
	s_delay_alu instid0(VALU_DEP_1) | instskip(SKIP_1) | instid1(VALU_DEP_1)
	v_add_f32_e32 v1, v1, v5
	;; [unrolled: 4-line block ×3, first 2 shown]
	s_waitcnt lgkmcnt(0)
	v_add_f32_e32 v1, v1, v9
	ds_store_b32 v12, v1
.LBB8_10:
	s_or_b32 exec_lo, exec_lo, s1
	s_waitcnt lgkmcnt(0)
	s_barrier
	buffer_gl0_inv
	s_and_saveexec_b32 s0, vcc_lo
	s_cbranch_execz .LBB8_13
; %bb.11:
	s_mul_i32 s0, s15, s9
	s_mul_hi_u32 s1, s15, s8
	s_mul_i32 s2, s24, s8
	s_add_i32 s0, s1, s0
	v_mov_b32_e32 v1, 0
	s_add_i32 s1, s0, s2
	s_mul_i32 s0, s15, s8
	v_add3_u32 v4, v3, 0, 0x80
	s_lshl_b64 s[0:1], s[0:1], 2
	ds_load_b32 v1, v1
	s_add_u32 s0, s6, s0
	s_addc_u32 s1, s7, s1
	s_load_b32 s4, s[0:1], 0x0
	s_add_i32 s0, s22, s21
	s_delay_alu instid0(SALU_CYCLE_1) | instskip(SKIP_2) | instid1(SALU_CYCLE_1)
	s_add_i32 s17, s0, s23
	s_lshl_b64 s[0:1], s[18:19], 2
	s_lshl_b64 s[2:3], s[16:17], 2
	s_add_u32 s2, s2, s0
	s_addc_u32 s3, s3, s1
	s_lshl_b64 s[0:1], s[12:13], 2
	s_delay_alu instid0(SALU_CYCLE_1)
	s_add_u32 s0, s2, s0
	s_addc_u32 s1, s3, s1
	s_add_u32 s0, s10, s0
	s_addc_u32 s1, s11, s1
	s_waitcnt lgkmcnt(0)
	v_mul_f32_e64 v5, v1, -s4
	v_add_co_u32 v1, s0, s0, v3
	s_delay_alu instid0(VALU_DEP_1)
	v_add_co_ci_u32_e64 v2, null, s1, 0, s0
	s_mov_b32 s1, 0
	.p2align	6
.LBB8_12:                               ; =>This Inner Loop Header: Depth=1
	global_load_b32 v3, v[1:2], off
	ds_load_b32 v6, v4
	v_add_nc_u32_e32 v0, 0x400, v0
	s_waitcnt vmcnt(0) lgkmcnt(0)
	v_dual_fmac_f32 v3, v5, v6 :: v_dual_add_nc_u32 v4, 0x1000, v4
	s_delay_alu instid0(VALU_DEP_2) | instskip(SKIP_2) | instid1(VALU_DEP_1)
	v_cmp_le_i32_e32 vcc_lo, s20, v0
	global_store_b32 v[1:2], v3, off
	v_add_co_u32 v1, s0, 0x1000, v1
	v_add_co_ci_u32_e64 v2, s0, 0, v2, s0
	s_or_b32 s1, vcc_lo, s1
	s_delay_alu instid0(SALU_CYCLE_1)
	s_and_not1_b32 exec_lo, exec_lo, s1
	s_cbranch_execnz .LBB8_12
.LBB8_13:
	s_nop 0
	s_sendmsg sendmsg(MSG_DEALLOC_VGPRS)
	s_endpgm
	.section	.rodata,"a",@progbits
	.p2align	6, 0x0
	.amdhsa_kernel _ZN9rocsolver6v33100L16larf_left_kernelILi1024EfiPfEEvT1_S3_T2_lS3_lPKT0_lS4_lS3_l
		.amdhsa_group_segment_fixed_size 0
		.amdhsa_private_segment_fixed_size 0
		.amdhsa_kernarg_size 88
		.amdhsa_user_sgpr_count 13
		.amdhsa_user_sgpr_dispatch_ptr 0
		.amdhsa_user_sgpr_queue_ptr 0
		.amdhsa_user_sgpr_kernarg_segment_ptr 1
		.amdhsa_user_sgpr_dispatch_id 0
		.amdhsa_user_sgpr_private_segment_size 0
		.amdhsa_wavefront_size32 1
		.amdhsa_uses_dynamic_stack 0
		.amdhsa_enable_private_segment 0
		.amdhsa_system_sgpr_workgroup_id_x 1
		.amdhsa_system_sgpr_workgroup_id_y 1
		.amdhsa_system_sgpr_workgroup_id_z 1
		.amdhsa_system_sgpr_workgroup_info 0
		.amdhsa_system_vgpr_workitem_id 0
		.amdhsa_next_free_vgpr 13
		.amdhsa_next_free_sgpr 30
		.amdhsa_reserve_vcc 1
		.amdhsa_float_round_mode_32 0
		.amdhsa_float_round_mode_16_64 0
		.amdhsa_float_denorm_mode_32 3
		.amdhsa_float_denorm_mode_16_64 3
		.amdhsa_dx10_clamp 1
		.amdhsa_ieee_mode 1
		.amdhsa_fp16_overflow 0
		.amdhsa_workgroup_processor_mode 1
		.amdhsa_memory_ordered 1
		.amdhsa_forward_progress 0
		.amdhsa_shared_vgpr_count 0
		.amdhsa_exception_fp_ieee_invalid_op 0
		.amdhsa_exception_fp_denorm_src 0
		.amdhsa_exception_fp_ieee_div_zero 0
		.amdhsa_exception_fp_ieee_overflow 0
		.amdhsa_exception_fp_ieee_underflow 0
		.amdhsa_exception_fp_ieee_inexact 0
		.amdhsa_exception_int_div_zero 0
	.end_amdhsa_kernel
	.section	.text._ZN9rocsolver6v33100L16larf_left_kernelILi1024EfiPfEEvT1_S3_T2_lS3_lPKT0_lS4_lS3_l,"axG",@progbits,_ZN9rocsolver6v33100L16larf_left_kernelILi1024EfiPfEEvT1_S3_T2_lS3_lPKT0_lS4_lS3_l,comdat
.Lfunc_end8:
	.size	_ZN9rocsolver6v33100L16larf_left_kernelILi1024EfiPfEEvT1_S3_T2_lS3_lPKT0_lS4_lS3_l, .Lfunc_end8-_ZN9rocsolver6v33100L16larf_left_kernelILi1024EfiPfEEvT1_S3_T2_lS3_lPKT0_lS4_lS3_l
                                        ; -- End function
	.section	.AMDGPU.csdata,"",@progbits
; Kernel info:
; codeLenInByte = 1528
; NumSgprs: 32
; NumVgprs: 13
; ScratchSize: 0
; MemoryBound: 0
; FloatMode: 240
; IeeeMode: 1
; LDSByteSize: 0 bytes/workgroup (compile time only)
; SGPRBlocks: 3
; VGPRBlocks: 1
; NumSGPRsForWavesPerEU: 32
; NumVGPRsForWavesPerEU: 13
; Occupancy: 16
; WaveLimiterHint : 0
; COMPUTE_PGM_RSRC2:SCRATCH_EN: 0
; COMPUTE_PGM_RSRC2:USER_SGPR: 13
; COMPUTE_PGM_RSRC2:TRAP_HANDLER: 0
; COMPUTE_PGM_RSRC2:TGID_X_EN: 1
; COMPUTE_PGM_RSRC2:TGID_Y_EN: 1
; COMPUTE_PGM_RSRC2:TGID_Z_EN: 1
; COMPUTE_PGM_RSRC2:TIDIG_COMP_CNT: 0
	.section	.text._ZN9rocsolver6v33100L17larf_right_kernelILi1024EfiPfEEvT1_S3_T2_lS3_lPKT0_lS4_lS3_l,"axG",@progbits,_ZN9rocsolver6v33100L17larf_right_kernelILi1024EfiPfEEvT1_S3_T2_lS3_lPKT0_lS4_lS3_l,comdat
	.globl	_ZN9rocsolver6v33100L17larf_right_kernelILi1024EfiPfEEvT1_S3_T2_lS3_lPKT0_lS4_lS3_l ; -- Begin function _ZN9rocsolver6v33100L17larf_right_kernelILi1024EfiPfEEvT1_S3_T2_lS3_lPKT0_lS4_lS3_l
	.p2align	8
	.type	_ZN9rocsolver6v33100L17larf_right_kernelILi1024EfiPfEEvT1_S3_T2_lS3_lPKT0_lS4_lS3_l,@function
_ZN9rocsolver6v33100L17larf_right_kernelILi1024EfiPfEEvT1_S3_T2_lS3_lPKT0_lS4_lS3_l: ; @_ZN9rocsolver6v33100L17larf_right_kernelILi1024EfiPfEEvT1_S3_T2_lS3_lPKT0_lS4_lS3_l
; %bb.0:
	s_clause 0x4
	s_load_b32 s24, s[0:1], 0x4
	s_load_b64 s[16:17], s[0:1], 0x50
	s_load_b64 s[20:21], s[0:1], 0x40
	s_load_b32 s12, s[0:1], 0x48
	s_load_b256 s[4:11], s[0:1], 0x20
	v_mov_b32_e32 v5, 0
	v_lshlrev_b32_e32 v3, 2, v0
	s_mov_b32 s2, s15
	s_ashr_i32 s27, s15, 31
	s_ashr_i32 s15, s14, 31
	s_waitcnt lgkmcnt(0)
	v_cmp_gt_i32_e32 vcc_lo, s24, v0
	s_mul_i32 s3, s16, s27
	s_mul_hi_u32 s26, s16, s2
	s_mul_i32 s25, s17, s2
	s_mul_i32 s22, s16, s2
	s_and_saveexec_b32 s28, vcc_lo
	s_cbranch_execz .LBB9_6
; %bb.1:
	s_clause 0x1
	s_load_b32 s30, s[0:1], 0x18
	s_load_b128 s[16:19], s[0:1], 0x8
	s_sub_i32 s1, 1, s24
	s_mul_i32 s13, s4, s27
	s_mul_hi_u32 s29, s4, s2
	s_mul_i32 s0, s4, s2
	s_mul_i32 s33, s5, s2
	v_add3_u32 v4, v3, 0, 0x80
	v_mov_b32_e32 v6, v0
	s_delay_alu instid0(VALU_DEP_2)
	v_mov_b32_e32 v5, v4
	s_waitcnt lgkmcnt(0)
	s_ashr_i32 s31, s30, 31
	v_mad_i64_i32 v[1:2], null, s30, v0, 0
	v_cmp_lt_i64_e64 s23, s[30:31], 1
	s_mul_i32 s1, s1, s30
	s_delay_alu instid0(VALU_DEP_1)
	s_and_b32 s4, s23, exec_lo
	s_cselect_b32 s4, s1, 0
	s_add_i32 s1, s29, s13
	s_ashr_i32 s5, s4, 31
	s_add_i32 s1, s1, s33
	s_lshl_b64 s[4:5], s[4:5], 2
	s_lshl_b64 s[18:19], s[18:19], 2
	;; [unrolled: 1-line block ×3, first 2 shown]
	v_lshlrev_b64 v[1:2], 2, v[1:2]
	s_add_u32 s4, s16, s4
	s_addc_u32 s5, s17, s5
	s_add_u32 s4, s4, s18
	s_addc_u32 s5, s5, s19
	;; [unrolled: 2-line block ×3, first 2 shown]
	v_add_co_u32 v1, s0, s0, v1
	s_delay_alu instid0(VALU_DEP_1)
	v_add_co_ci_u32_e64 v2, s0, s1, v2, s0
	s_mov_b32 s13, 0
	s_lshl_b64 s[4:5], s[30:31], 12
	.p2align	6
.LBB9_2:                                ; =>This Inner Loop Header: Depth=1
	global_load_b32 v7, v[1:2], off
	v_add_nc_u32_e32 v6, 0x400, v6
	v_add_co_u32 v1, s0, v1, s4
	s_delay_alu instid0(VALU_DEP_1) | instskip(NEXT) | instid1(VALU_DEP_3)
	v_add_co_ci_u32_e64 v2, s0, s5, v2, s0
	v_cmp_le_i32_e64 s1, s24, v6
	s_delay_alu instid0(VALU_DEP_1)
	s_or_b32 s13, s1, s13
	s_waitcnt vmcnt(0)
	ds_store_b32 v5, v7
	v_add_nc_u32_e32 v5, 0x1000, v5
	s_and_not1_b32 exec_lo, exec_lo, s13
	s_cbranch_execnz .LBB9_2
; %bb.3:
	s_or_b32 exec_lo, exec_lo, s13
	v_mad_i64_i32 v[1:2], null, s12, v0, 0
	s_add_i32 s4, s26, s3
	s_ashr_i32 s13, s12, 31
	s_add_i32 s23, s4, s25
	s_lshl_b64 s[4:5], s[14:15], 2
	s_lshl_b64 s[0:1], s[20:21], 2
	;; [unrolled: 1-line block ×3, first 2 shown]
	s_delay_alu instid0(VALU_DEP_1)
	v_lshlrev_b64 v[1:2], 2, v[1:2]
	s_add_u32 s4, s10, s4
	s_addc_u32 s5, s11, s5
	s_add_u32 s0, s4, s0
	s_addc_u32 s1, s5, s1
	;; [unrolled: 2-line block ×3, first 2 shown]
	v_add_co_u32 v1, s0, s0, v1
	s_delay_alu instid0(VALU_DEP_1)
	v_add_co_ci_u32_e64 v2, s0, s1, v2, s0
	v_dual_mov_b32 v5, 0 :: v_dual_mov_b32 v6, v0
	s_lshl_b64 s[4:5], s[12:13], 12
	s_mov_b32 s13, 0
	.p2align	6
.LBB9_4:                                ; =>This Inner Loop Header: Depth=1
	global_load_b32 v7, v[1:2], off
	ds_load_b32 v8, v4
	v_add_nc_u32_e32 v6, 0x400, v6
	v_add_co_u32 v1, s0, v1, s4
	s_delay_alu instid0(VALU_DEP_1) | instskip(SKIP_3) | instid1(VALU_DEP_2)
	v_add_co_ci_u32_e64 v2, s0, s5, v2, s0
	s_waitcnt vmcnt(0) lgkmcnt(0)
	v_mul_f32_e32 v7, v7, v8
	v_cmp_le_i32_e64 s1, s24, v6
	v_dual_add_f32 v5, v5, v7 :: v_dual_add_nc_u32 v4, 0x1000, v4
	s_delay_alu instid0(VALU_DEP_2) | instskip(NEXT) | instid1(SALU_CYCLE_1)
	s_or_b32 s13, s1, s13
	s_and_not1_b32 exec_lo, exec_lo, s13
	s_cbranch_execnz .LBB9_4
; %bb.5:
	s_or_b32 exec_lo, exec_lo, s13
.LBB9_6:
	s_delay_alu instid0(SALU_CYCLE_1) | instskip(SKIP_2) | instid1(VALU_DEP_1)
	s_or_b32 exec_lo, exec_lo, s28
	v_mbcnt_lo_u32_b32 v1, -1, 0
	s_mov_b32 s1, exec_lo
	v_cmp_ne_u32_e64 s0, 31, v1
	s_delay_alu instid0(VALU_DEP_1) | instskip(SKIP_1) | instid1(VALU_DEP_2)
	v_add_co_ci_u32_e64 v2, s0, 0, v1, s0
	v_cmp_gt_u32_e64 s0, 30, v1
	v_lshlrev_b32_e32 v2, 2, v2
	s_delay_alu instid0(VALU_DEP_2) | instskip(SKIP_3) | instid1(VALU_DEP_1)
	v_cndmask_b32_e64 v4, 0, 1, s0
	v_cmp_gt_u32_e64 s0, 28, v1
	ds_bpermute_b32 v2, v2, v5
	v_lshlrev_b32_e32 v4, 1, v4
	v_add_lshl_u32 v4, v4, v1, 2
	s_waitcnt lgkmcnt(0)
	v_add_f32_e32 v2, v5, v2
	v_cndmask_b32_e64 v5, 0, 1, s0
	v_cmp_gt_u32_e64 s0, 24, v1
	s_delay_alu instid0(VALU_DEP_2)
	v_lshlrev_b32_e32 v5, 2, v5
	ds_bpermute_b32 v4, v4, v2
	v_add_lshl_u32 v5, v5, v1, 2
	s_waitcnt lgkmcnt(0)
	v_add_f32_e32 v2, v2, v4
	ds_bpermute_b32 v4, v5, v2
	v_cndmask_b32_e64 v5, 0, 1, s0
	v_cmp_gt_u32_e64 s0, 16, v1
	s_delay_alu instid0(VALU_DEP_2) | instskip(NEXT) | instid1(VALU_DEP_1)
	v_lshlrev_b32_e32 v5, 3, v5
	v_add_lshl_u32 v5, v5, v1, 2
	s_waitcnt lgkmcnt(0)
	v_add_f32_e32 v2, v2, v4
	ds_bpermute_b32 v4, v5, v2
	v_cndmask_b32_e64 v5, 0, 1, s0
	s_delay_alu instid0(VALU_DEP_1) | instskip(NEXT) | instid1(VALU_DEP_1)
	v_lshlrev_b32_e32 v5, 4, v5
	v_add_lshl_u32 v1, v5, v1, 2
	s_waitcnt lgkmcnt(0)
	v_add_f32_e32 v2, v2, v4
	v_and_b32_e32 v4, 31, v0
	ds_bpermute_b32 v1, v1, v2
	s_waitcnt lgkmcnt(0)
	v_add_f32_e32 v1, v2, v1
	v_cmpx_eq_u32_e32 0, v4
	s_cbranch_execz .LBB9_8
; %bb.7:
	v_lshrrev_b32_e32 v2, 3, v0
	s_delay_alu instid0(VALU_DEP_1)
	v_add_nc_u32_e32 v2, 0, v2
	ds_store_b32 v2, v1
.LBB9_8:
	s_or_b32 exec_lo, exec_lo, s1
	s_delay_alu instid0(SALU_CYCLE_1)
	s_mov_b32 s1, exec_lo
	s_waitcnt lgkmcnt(0)
	s_barrier
	buffer_gl0_inv
	v_cmpx_eq_u32_e32 0, v0
	s_cbranch_execz .LBB9_10
; %bb.9:
	v_mov_b32_e32 v12, 0
	ds_load_2addr_b32 v[4:5], v12 offset0:1 offset1:2
	ds_load_2addr_b32 v[6:7], v12 offset0:3 offset1:4
	;; [unrolled: 1-line block ×4, first 2 shown]
	s_waitcnt lgkmcnt(3)
	v_add_f32_e32 v1, v1, v4
	s_delay_alu instid0(VALU_DEP_1) | instskip(SKIP_1) | instid1(VALU_DEP_1)
	v_add_f32_e32 v1, v1, v5
	s_waitcnt lgkmcnt(2)
	v_add_f32_e32 v1, v1, v6
	s_delay_alu instid0(VALU_DEP_1) | instskip(SKIP_1) | instid1(VALU_DEP_1)
	v_add_f32_e32 v1, v1, v7
	s_waitcnt lgkmcnt(1)
	v_add_f32_e32 v4, v1, v8
	ds_load_2addr_b32 v[1:2], v12 offset0:9 offset1:10
	v_add_f32_e32 v4, v4, v9
	s_waitcnt lgkmcnt(1)
	s_delay_alu instid0(VALU_DEP_1)
	v_add_f32_e32 v6, v4, v10
	ds_load_2addr_b32 v[4:5], v12 offset0:11 offset1:12
	v_add_f32_e32 v10, v6, v11
	ds_load_2addr_b32 v[6:7], v12 offset0:13 offset1:14
	ds_load_2addr_b32 v[8:9], v12 offset0:15 offset1:16
	s_waitcnt lgkmcnt(3)
	v_add_f32_e32 v1, v10, v1
	s_delay_alu instid0(VALU_DEP_1) | instskip(SKIP_1) | instid1(VALU_DEP_1)
	v_add_f32_e32 v1, v1, v2
	s_waitcnt lgkmcnt(2)
	v_add_f32_e32 v1, v1, v4
	s_delay_alu instid0(VALU_DEP_1) | instskip(SKIP_1) | instid1(VALU_DEP_1)
	v_add_f32_e32 v1, v1, v5
	s_waitcnt lgkmcnt(1)
	v_add_f32_e32 v4, v1, v6
	ds_load_2addr_b32 v[1:2], v12 offset0:17 offset1:18
	v_add_f32_e32 v4, v4, v7
	s_waitcnt lgkmcnt(1)
	s_delay_alu instid0(VALU_DEP_1)
	v_add_f32_e32 v6, v4, v8
	ds_load_2addr_b32 v[4:5], v12 offset0:19 offset1:20
	v_add_f32_e32 v10, v6, v9
	ds_load_2addr_b32 v[6:7], v12 offset0:21 offset1:22
	ds_load_2addr_b32 v[8:9], v12 offset0:23 offset1:24
	s_waitcnt lgkmcnt(3)
	v_add_f32_e32 v1, v10, v1
	s_delay_alu instid0(VALU_DEP_1) | instskip(SKIP_1) | instid1(VALU_DEP_1)
	v_add_f32_e32 v1, v1, v2
	s_waitcnt lgkmcnt(2)
	v_add_f32_e32 v1, v1, v4
	s_delay_alu instid0(VALU_DEP_1) | instskip(SKIP_1) | instid1(VALU_DEP_1)
	v_add_f32_e32 v1, v1, v5
	s_waitcnt lgkmcnt(1)
	v_add_f32_e32 v4, v1, v6
	ds_load_2addr_b32 v[1:2], v12 offset0:25 offset1:26
	v_add_f32_e32 v4, v4, v7
	s_waitcnt lgkmcnt(1)
	s_delay_alu instid0(VALU_DEP_1)
	v_add_f32_e32 v6, v4, v8
	ds_load_2addr_b32 v[4:5], v12 offset0:27 offset1:28
	v_add_f32_e32 v8, v6, v9
	ds_load_2addr_b32 v[6:7], v12 offset0:29 offset1:30
	ds_load_b32 v9, v12 offset:124
	s_waitcnt lgkmcnt(3)
	v_add_f32_e32 v1, v8, v1
	s_delay_alu instid0(VALU_DEP_1) | instskip(SKIP_1) | instid1(VALU_DEP_1)
	v_add_f32_e32 v1, v1, v2
	s_waitcnt lgkmcnt(2)
	v_add_f32_e32 v1, v1, v4
	s_delay_alu instid0(VALU_DEP_1) | instskip(SKIP_1) | instid1(VALU_DEP_1)
	v_add_f32_e32 v1, v1, v5
	;; [unrolled: 4-line block ×3, first 2 shown]
	s_waitcnt lgkmcnt(0)
	v_add_f32_e32 v1, v1, v9
	ds_store_b32 v12, v1
.LBB9_10:
	s_or_b32 exec_lo, exec_lo, s1
	s_waitcnt lgkmcnt(0)
	s_barrier
	buffer_gl0_inv
	s_and_saveexec_b32 s0, vcc_lo
	s_cbranch_execz .LBB9_13
; %bb.11:
	s_mul_i32 s0, s2, s9
	s_mul_hi_u32 s1, s2, s8
	s_mul_i32 s4, s27, s8
	s_add_i32 s0, s1, s0
	v_mov_b32_e32 v1, 0
	s_add_i32 s1, s0, s4
	s_mul_i32 s0, s2, s8
	v_add3_u32 v3, v3, 0, 0x80
	s_lshl_b64 s[0:1], s[0:1], 2
	ds_load_b32 v4, v1
	s_add_u32 s0, s6, s0
	s_addc_u32 s1, s7, s1
	v_mad_i64_i32 v[1:2], null, s12, v0, 0
	s_load_b32 s6, s[0:1], 0x0
	s_add_i32 s2, s26, s3
	s_ashr_i32 s13, s12, 31
	s_add_i32 s23, s2, s25
	s_lshl_b64 s[2:3], s[14:15], 2
	s_lshl_b64 s[0:1], s[20:21], 2
	;; [unrolled: 1-line block ×3, first 2 shown]
	v_lshlrev_b64 v[1:2], 2, v[1:2]
	s_add_u32 s2, s10, s2
	s_addc_u32 s3, s11, s3
	s_add_u32 s0, s2, s0
	s_addc_u32 s1, s3, s1
	;; [unrolled: 2-line block ×3, first 2 shown]
	v_add_co_u32 v1, vcc_lo, s0, v1
	v_add_co_ci_u32_e32 v2, vcc_lo, s1, v2, vcc_lo
	s_mov_b32 s1, 0
	s_lshl_b64 s[2:3], s[12:13], 12
	s_waitcnt lgkmcnt(0)
	v_mul_f32_e64 v4, v4, -s6
	.p2align	6
.LBB9_12:                               ; =>This Inner Loop Header: Depth=1
	global_load_b32 v5, v[1:2], off
	ds_load_b32 v6, v3
	v_add_nc_u32_e32 v0, 0x400, v0
	v_add_nc_u32_e32 v3, 0x1000, v3
	s_waitcnt vmcnt(0) lgkmcnt(0)
	v_fmac_f32_e32 v5, v4, v6
	s_delay_alu instid0(VALU_DEP_3) | instskip(SKIP_2) | instid1(VALU_DEP_1)
	v_cmp_le_i32_e32 vcc_lo, s24, v0
	global_store_b32 v[1:2], v5, off
	v_add_co_u32 v1, s0, v1, s2
	v_add_co_ci_u32_e64 v2, s0, s3, v2, s0
	s_or_b32 s1, vcc_lo, s1
	s_delay_alu instid0(SALU_CYCLE_1)
	s_and_not1_b32 exec_lo, exec_lo, s1
	s_cbranch_execnz .LBB9_12
.LBB9_13:
	s_nop 0
	s_sendmsg sendmsg(MSG_DEALLOC_VGPRS)
	s_endpgm
	.section	.rodata,"a",@progbits
	.p2align	6, 0x0
	.amdhsa_kernel _ZN9rocsolver6v33100L17larf_right_kernelILi1024EfiPfEEvT1_S3_T2_lS3_lPKT0_lS4_lS3_l
		.amdhsa_group_segment_fixed_size 0
		.amdhsa_private_segment_fixed_size 0
		.amdhsa_kernarg_size 88
		.amdhsa_user_sgpr_count 13
		.amdhsa_user_sgpr_dispatch_ptr 0
		.amdhsa_user_sgpr_queue_ptr 0
		.amdhsa_user_sgpr_kernarg_segment_ptr 1
		.amdhsa_user_sgpr_dispatch_id 0
		.amdhsa_user_sgpr_private_segment_size 0
		.amdhsa_wavefront_size32 1
		.amdhsa_uses_dynamic_stack 0
		.amdhsa_enable_private_segment 0
		.amdhsa_system_sgpr_workgroup_id_x 1
		.amdhsa_system_sgpr_workgroup_id_y 1
		.amdhsa_system_sgpr_workgroup_id_z 1
		.amdhsa_system_sgpr_workgroup_info 0
		.amdhsa_system_vgpr_workitem_id 0
		.amdhsa_next_free_vgpr 13
		.amdhsa_next_free_sgpr 34
		.amdhsa_reserve_vcc 1
		.amdhsa_float_round_mode_32 0
		.amdhsa_float_round_mode_16_64 0
		.amdhsa_float_denorm_mode_32 3
		.amdhsa_float_denorm_mode_16_64 3
		.amdhsa_dx10_clamp 1
		.amdhsa_ieee_mode 1
		.amdhsa_fp16_overflow 0
		.amdhsa_workgroup_processor_mode 1
		.amdhsa_memory_ordered 1
		.amdhsa_forward_progress 0
		.amdhsa_shared_vgpr_count 0
		.amdhsa_exception_fp_ieee_invalid_op 0
		.amdhsa_exception_fp_denorm_src 0
		.amdhsa_exception_fp_ieee_div_zero 0
		.amdhsa_exception_fp_ieee_overflow 0
		.amdhsa_exception_fp_ieee_underflow 0
		.amdhsa_exception_fp_ieee_inexact 0
		.amdhsa_exception_int_div_zero 0
	.end_amdhsa_kernel
	.section	.text._ZN9rocsolver6v33100L17larf_right_kernelILi1024EfiPfEEvT1_S3_T2_lS3_lPKT0_lS4_lS3_l,"axG",@progbits,_ZN9rocsolver6v33100L17larf_right_kernelILi1024EfiPfEEvT1_S3_T2_lS3_lPKT0_lS4_lS3_l,comdat
.Lfunc_end9:
	.size	_ZN9rocsolver6v33100L17larf_right_kernelILi1024EfiPfEEvT1_S3_T2_lS3_lPKT0_lS4_lS3_l, .Lfunc_end9-_ZN9rocsolver6v33100L17larf_right_kernelILi1024EfiPfEEvT1_S3_T2_lS3_lPKT0_lS4_lS3_l
                                        ; -- End function
	.section	.AMDGPU.csdata,"",@progbits
; Kernel info:
; codeLenInByte = 1552
; NumSgprs: 36
; NumVgprs: 13
; ScratchSize: 0
; MemoryBound: 0
; FloatMode: 240
; IeeeMode: 1
; LDSByteSize: 0 bytes/workgroup (compile time only)
; SGPRBlocks: 4
; VGPRBlocks: 1
; NumSGPRsForWavesPerEU: 36
; NumVGPRsForWavesPerEU: 13
; Occupancy: 16
; WaveLimiterHint : 0
; COMPUTE_PGM_RSRC2:SCRATCH_EN: 0
; COMPUTE_PGM_RSRC2:USER_SGPR: 13
; COMPUTE_PGM_RSRC2:TRAP_HANDLER: 0
; COMPUTE_PGM_RSRC2:TGID_X_EN: 1
; COMPUTE_PGM_RSRC2:TGID_Y_EN: 1
; COMPUTE_PGM_RSRC2:TGID_Z_EN: 1
; COMPUTE_PGM_RSRC2:TIDIG_COMP_CNT: 0
	.section	.text._ZN9rocsolver6v33100L12restore_diagIfifPfEEvPT1_llT2_lT0_lS6_,"axG",@progbits,_ZN9rocsolver6v33100L12restore_diagIfifPfEEvPT1_llT2_lT0_lS6_,comdat
	.globl	_ZN9rocsolver6v33100L12restore_diagIfifPfEEvPT1_llT2_lT0_lS6_ ; -- Begin function _ZN9rocsolver6v33100L12restore_diagIfifPfEEvPT1_llT2_lT0_lS6_
	.p2align	8
	.type	_ZN9rocsolver6v33100L12restore_diagIfifPfEEvPT1_llT2_lT0_lS6_,@function
_ZN9rocsolver6v33100L12restore_diagIfifPfEEvPT1_llT2_lT0_lS6_: ; @_ZN9rocsolver6v33100L12restore_diagIfifPfEEvPT1_llT2_lT0_lS6_
; %bb.0:
	s_clause 0x1
	s_load_b32 s2, s[0:1], 0x4c
	s_load_b32 s3, s[0:1], 0x38
	v_bfe_u32 v2, v0, 10, 10
	s_waitcnt lgkmcnt(0)
	s_lshr_b32 s2, s2, 16
	s_delay_alu instid0(VALU_DEP_1) | instid1(SALU_CYCLE_1)
	v_mad_u64_u32 v[0:1], null, s15, s2, v[2:3]
	s_mov_b32 s2, exec_lo
	s_delay_alu instid0(VALU_DEP_1)
	v_cmpx_gt_i32_e64 s3, v0
	s_cbranch_execz .LBB10_2
; %bb.1:
	s_clause 0x3
	s_load_b64 s[2:3], s[0:1], 0x30
	s_load_b256 s[4:11], s[0:1], 0x0
	s_load_b32 s12, s[0:1], 0x28
	s_load_b64 s[0:1], s[0:1], 0x20
	s_ashr_i32 s13, s14, 31
	s_waitcnt lgkmcnt(0)
	s_mul_i32 s3, s14, s3
	s_mul_hi_u32 s15, s14, s2
	s_mul_i32 s16, s13, s2
	s_add_i32 s3, s15, s3
	s_mul_i32 s2, s14, s2
	s_add_i32 s3, s3, s16
	s_mul_i32 s9, s14, s9
	s_lshl_b64 s[2:3], s[2:3], 2
	s_mul_hi_u32 s15, s14, s8
	s_add_u32 s2, s10, s2
	s_addc_u32 s3, s11, s3
	s_lshl_b64 s[0:1], s[0:1], 2
	s_mul_i32 s13, s13, s8
	s_add_u32 s2, s2, s0
	v_mad_u64_u32 v[2:3], null, v0, s12, v[0:1]
	v_ashrrev_i32_e32 v1, 31, v0
	s_addc_u32 s3, s3, s1
	s_add_i32 s1, s15, s9
	s_mul_i32 s0, s14, s8
	s_add_i32 s1, s1, s13
	v_lshlrev_b64 v[0:1], 2, v[0:1]
	s_lshl_b64 s[0:1], s[0:1], 2
	v_ashrrev_i32_e32 v3, 31, v2
	s_add_u32 s4, s4, s0
	s_addc_u32 s5, s5, s1
	s_lshl_b64 s[0:1], s[6:7], 2
	s_delay_alu instid0(SALU_CYCLE_1)
	s_add_u32 s0, s4, s0
	s_addc_u32 s1, s5, s1
	v_add_co_u32 v0, vcc_lo, s0, v0
	v_add_co_ci_u32_e32 v1, vcc_lo, s1, v1, vcc_lo
	global_load_b32 v4, v[0:1], off
	v_lshlrev_b64 v[0:1], 2, v[2:3]
	s_delay_alu instid0(VALU_DEP_1) | instskip(NEXT) | instid1(VALU_DEP_2)
	v_add_co_u32 v0, vcc_lo, s2, v0
	v_add_co_ci_u32_e32 v1, vcc_lo, s3, v1, vcc_lo
	s_waitcnt vmcnt(0)
	global_store_b32 v[0:1], v4, off
.LBB10_2:
	s_nop 0
	s_sendmsg sendmsg(MSG_DEALLOC_VGPRS)
	s_endpgm
	.section	.rodata,"a",@progbits
	.p2align	6, 0x0
	.amdhsa_kernel _ZN9rocsolver6v33100L12restore_diagIfifPfEEvPT1_llT2_lT0_lS6_
		.amdhsa_group_segment_fixed_size 0
		.amdhsa_private_segment_fixed_size 0
		.amdhsa_kernarg_size 320
		.amdhsa_user_sgpr_count 14
		.amdhsa_user_sgpr_dispatch_ptr 0
		.amdhsa_user_sgpr_queue_ptr 0
		.amdhsa_user_sgpr_kernarg_segment_ptr 1
		.amdhsa_user_sgpr_dispatch_id 0
		.amdhsa_user_sgpr_private_segment_size 0
		.amdhsa_wavefront_size32 1
		.amdhsa_uses_dynamic_stack 0
		.amdhsa_enable_private_segment 0
		.amdhsa_system_sgpr_workgroup_id_x 1
		.amdhsa_system_sgpr_workgroup_id_y 1
		.amdhsa_system_sgpr_workgroup_id_z 0
		.amdhsa_system_sgpr_workgroup_info 0
		.amdhsa_system_vgpr_workitem_id 1
		.amdhsa_next_free_vgpr 5
		.amdhsa_next_free_sgpr 17
		.amdhsa_reserve_vcc 1
		.amdhsa_float_round_mode_32 0
		.amdhsa_float_round_mode_16_64 0
		.amdhsa_float_denorm_mode_32 3
		.amdhsa_float_denorm_mode_16_64 3
		.amdhsa_dx10_clamp 1
		.amdhsa_ieee_mode 1
		.amdhsa_fp16_overflow 0
		.amdhsa_workgroup_processor_mode 1
		.amdhsa_memory_ordered 1
		.amdhsa_forward_progress 0
		.amdhsa_shared_vgpr_count 0
		.amdhsa_exception_fp_ieee_invalid_op 0
		.amdhsa_exception_fp_denorm_src 0
		.amdhsa_exception_fp_ieee_div_zero 0
		.amdhsa_exception_fp_ieee_overflow 0
		.amdhsa_exception_fp_ieee_underflow 0
		.amdhsa_exception_fp_ieee_inexact 0
		.amdhsa_exception_int_div_zero 0
	.end_amdhsa_kernel
	.section	.text._ZN9rocsolver6v33100L12restore_diagIfifPfEEvPT1_llT2_lT0_lS6_,"axG",@progbits,_ZN9rocsolver6v33100L12restore_diagIfifPfEEvPT1_llT2_lT0_lS6_,comdat
.Lfunc_end10:
	.size	_ZN9rocsolver6v33100L12restore_diagIfifPfEEvPT1_llT2_lT0_lS6_, .Lfunc_end10-_ZN9rocsolver6v33100L12restore_diagIfifPfEEvPT1_llT2_lT0_lS6_
                                        ; -- End function
	.section	.AMDGPU.csdata,"",@progbits
; Kernel info:
; codeLenInByte = 304
; NumSgprs: 19
; NumVgprs: 5
; ScratchSize: 0
; MemoryBound: 0
; FloatMode: 240
; IeeeMode: 1
; LDSByteSize: 0 bytes/workgroup (compile time only)
; SGPRBlocks: 2
; VGPRBlocks: 0
; NumSGPRsForWavesPerEU: 19
; NumVGPRsForWavesPerEU: 5
; Occupancy: 16
; WaveLimiterHint : 0
; COMPUTE_PGM_RSRC2:SCRATCH_EN: 0
; COMPUTE_PGM_RSRC2:USER_SGPR: 14
; COMPUTE_PGM_RSRC2:TRAP_HANDLER: 0
; COMPUTE_PGM_RSRC2:TGID_X_EN: 1
; COMPUTE_PGM_RSRC2:TGID_Y_EN: 1
; COMPUTE_PGM_RSRC2:TGID_Z_EN: 0
; COMPUTE_PGM_RSRC2:TIDIG_COMP_CNT: 1
	.section	.text._ZN9rocsolver6v33100L14set_triangularIfPfTnNSt9enable_ifIXnt18rocblas_is_complexIT_EEiE4typeELi0EEEviiT0_iilPS4_lS8_il15rocblas_direct_15rocblas_storev_b,"axG",@progbits,_ZN9rocsolver6v33100L14set_triangularIfPfTnNSt9enable_ifIXnt18rocblas_is_complexIT_EEiE4typeELi0EEEviiT0_iilPS4_lS8_il15rocblas_direct_15rocblas_storev_b,comdat
	.globl	_ZN9rocsolver6v33100L14set_triangularIfPfTnNSt9enable_ifIXnt18rocblas_is_complexIT_EEiE4typeELi0EEEviiT0_iilPS4_lS8_il15rocblas_direct_15rocblas_storev_b ; -- Begin function _ZN9rocsolver6v33100L14set_triangularIfPfTnNSt9enable_ifIXnt18rocblas_is_complexIT_EEiE4typeELi0EEEviiT0_iilPS4_lS8_il15rocblas_direct_15rocblas_storev_b
	.p2align	8
	.type	_ZN9rocsolver6v33100L14set_triangularIfPfTnNSt9enable_ifIXnt18rocblas_is_complexIT_EEiE4typeELi0EEEviiT0_iilPS4_lS8_il15rocblas_direct_15rocblas_storev_b,@function
_ZN9rocsolver6v33100L14set_triangularIfPfTnNSt9enable_ifIXnt18rocblas_is_complexIT_EEiE4typeELi0EEEviiT0_iilPS4_lS8_il15rocblas_direct_15rocblas_storev_b: ; @_ZN9rocsolver6v33100L14set_triangularIfPfTnNSt9enable_ifIXnt18rocblas_is_complexIT_EEiE4typeELi0EEEviiT0_iilPS4_lS8_il15rocblas_direct_15rocblas_storev_b
; %bb.0:
	s_clause 0x1
	s_load_b32 s2, s[0:1], 0x64
	s_load_b64 s[16:17], s[0:1], 0x0
	v_and_b32_e32 v2, 0x3ff, v0
	v_bfe_u32 v4, v0, 10, 10
	s_waitcnt lgkmcnt(0)
	s_lshr_b32 s3, s2, 16
	s_and_b32 s2, s2, 0xffff
	s_delay_alu instid0(SALU_CYCLE_1) | instskip(SKIP_2) | instid1(VALU_DEP_1)
	v_mad_u64_u32 v[0:1], null, s13, s2, v[2:3]
	v_mad_u64_u32 v[2:3], null, s14, s3, v[4:5]
	s_mov_b32 s2, exec_lo
	v_max_u32_e32 v1, v0, v2
	s_delay_alu instid0(VALU_DEP_1)
	v_cmpx_gt_u32_e64 s17, v1
	s_cbranch_execz .LBB11_36
; %bb.1:
	s_clause 0x2
	s_load_b256 s[4:11], s[0:1], 0x18
	s_load_b64 s[2:3], s[0:1], 0x40
	s_load_b32 s12, s[0:1], 0x38
	s_waitcnt lgkmcnt(0)
	s_mul_i32 s9, s15, s9
	s_mul_hi_u32 s13, s15, s8
	s_mul_i32 s8, s15, s8
	s_add_i32 s9, s13, s9
	s_mul_i32 s3, s15, s3
	s_lshl_b64 s[8:9], s[8:9], 2
	s_mul_hi_u32 s18, s15, s2
	s_add_u32 s13, s6, s8
	s_mul_i32 s2, s15, s2
	s_addc_u32 s14, s7, s9
	s_add_i32 s3, s18, s3
	s_delay_alu instid0(SALU_CYCLE_1) | instskip(NEXT) | instid1(SALU_CYCLE_1)
	s_lshl_b64 s[2:3], s[2:3], 2
	s_add_u32 s6, s10, s2
	s_addc_u32 s7, s11, s3
	s_mov_b32 s2, exec_lo
	v_cmpx_ne_u32_e64 v2, v0
	s_xor_b32 s18, exec_lo, s2
	s_cbranch_execz .LBB11_34
; %bb.2:
	s_clause 0x1
	s_load_b128 s[8:11], s[0:1], 0x8
	s_load_b128 s[0:3], s[0:1], 0x48
	s_waitcnt lgkmcnt(0)
	s_mul_i32 s3, s15, s5
	s_mul_hi_u32 s5, s15, s4
	s_mul_i32 s4, s15, s4
	s_add_i32 s5, s5, s3
	v_mov_b32_e32 v1, 0
	s_lshl_b64 s[4:5], s[4:5], 2
	s_ashr_i32 s21, s10, 31
	s_mov_b32 s20, s10
	s_add_u32 s3, s8, s4
	s_addc_u32 s8, s9, s5
	s_lshl_b64 s[4:5], s[20:21], 2
	s_delay_alu instid0(SALU_CYCLE_1) | instskip(SKIP_3) | instid1(SALU_CYCLE_1)
	s_add_u32 s3, s3, s4
	s_addc_u32 s4, s8, s5
	s_bitcmp1_b32 s2, 0
	s_cselect_b32 s2, -1, 0
	s_xor_b32 s2, s2, -1
	s_cmpk_lg_i32 s0, 0xab
	s_mov_b32 s0, -1
	s_cbranch_scc0 .LBB11_18
; %bb.3:
	s_mov_b32 s0, exec_lo
	v_cmpx_le_u32_e64 v2, v0
	s_xor_b32 s0, exec_lo, s0
	s_cbranch_execz .LBB11_5
; %bb.4:
	v_mad_u64_u32 v[4:5], null, v0, s12, 0
	s_ashr_i32 s5, s12, 31
	s_delay_alu instid0(VALU_DEP_1) | instskip(NEXT) | instid1(VALU_DEP_1)
	v_mov_b32_e32 v3, v5
	v_mad_u64_u32 v[5:6], null, v0, s5, v[3:4]
	v_mov_b32_e32 v3, 0
	s_delay_alu instid0(VALU_DEP_1) | instskip(NEXT) | instid1(VALU_DEP_3)
	v_lshlrev_b64 v[6:7], 2, v[2:3]
	v_lshlrev_b64 v[4:5], 2, v[4:5]
	s_delay_alu instid0(VALU_DEP_1) | instskip(NEXT) | instid1(VALU_DEP_2)
	v_add_co_u32 v4, vcc_lo, s6, v4
	v_add_co_ci_u32_e32 v5, vcc_lo, s7, v5, vcc_lo
	s_delay_alu instid0(VALU_DEP_2) | instskip(NEXT) | instid1(VALU_DEP_2)
	v_add_co_u32 v4, vcc_lo, v4, v6
	v_add_co_ci_u32_e32 v5, vcc_lo, v5, v7, vcc_lo
	global_store_b32 v[4:5], v3, off
.LBB11_5:
	s_and_not1_saveexec_b32 s0, s0
	s_cbranch_execz .LBB11_17
; %bb.6:
	v_lshlrev_b64 v[3:4], 2, v[0:1]
	s_cmpk_lg_i32 s1, 0xb5
	s_mov_b32 s5, -1
	s_delay_alu instid0(VALU_DEP_1) | instskip(NEXT) | instid1(VALU_DEP_2)
	v_add_co_u32 v3, vcc_lo, s13, v3
	v_add_co_ci_u32_e32 v4, vcc_lo, s14, v4, vcc_lo
	global_load_b32 v5, v[3:4], off
	s_cbranch_scc0 .LBB11_12
; %bb.7:
	v_mov_b32_e32 v3, 0
	s_and_not1_b32 vcc_lo, exec_lo, s2
	s_delay_alu instid0(VALU_DEP_1)
	v_lshlrev_b64 v[3:4], 2, v[2:3]
	s_cbranch_vccnz .LBB11_9
; %bb.8:
	s_sub_i32 s5, s16, s17
	s_delay_alu instid0(SALU_CYCLE_1) | instskip(SKIP_1) | instid1(VALU_DEP_1)
	v_add_nc_u32_e32 v10, s5, v0
	s_ashr_i32 s5, s11, 31
	v_mad_u64_u32 v[6:7], null, v10, s11, 0
	s_delay_alu instid0(VALU_DEP_1) | instskip(SKIP_1) | instid1(VALU_DEP_1)
	v_mad_u64_u32 v[8:9], null, v10, s5, v[7:8]
	s_ashr_i32 s5, s12, 31
	v_mov_b32_e32 v7, v8
	s_delay_alu instid0(VALU_DEP_1) | instskip(NEXT) | instid1(VALU_DEP_1)
	v_lshlrev_b64 v[6:7], 2, v[6:7]
	v_add_co_u32 v6, vcc_lo, s3, v6
	s_delay_alu instid0(VALU_DEP_2) | instskip(NEXT) | instid1(VALU_DEP_2)
	v_add_co_ci_u32_e32 v7, vcc_lo, s4, v7, vcc_lo
	v_add_co_u32 v6, vcc_lo, v6, v3
	s_delay_alu instid0(VALU_DEP_2) | instskip(SKIP_2) | instid1(VALU_DEP_1)
	v_add_co_ci_u32_e32 v7, vcc_lo, v7, v4, vcc_lo
	global_load_b32 v10, v[6:7], off
	v_mad_u64_u32 v[6:7], null, v0, s12, 0
	v_mad_u64_u32 v[8:9], null, v0, s5, v[7:8]
	s_mov_b32 s5, 0
	s_delay_alu instid0(VALU_DEP_1) | instskip(NEXT) | instid1(VALU_DEP_1)
	v_mov_b32_e32 v7, v8
	v_lshlrev_b64 v[6:7], 2, v[6:7]
	s_delay_alu instid0(VALU_DEP_1) | instskip(NEXT) | instid1(VALU_DEP_2)
	v_add_co_u32 v6, vcc_lo, s6, v6
	v_add_co_ci_u32_e32 v7, vcc_lo, s7, v7, vcc_lo
	s_delay_alu instid0(VALU_DEP_2) | instskip(NEXT) | instid1(VALU_DEP_2)
	v_add_co_u32 v6, vcc_lo, v6, v3
	v_add_co_ci_u32_e32 v7, vcc_lo, v7, v4, vcc_lo
	s_waitcnt vmcnt(0)
	v_mul_f32_e64 v8, v10, -v5
	global_store_b32 v[6:7], v8, off
.LBB11_9:
	s_and_not1_b32 vcc_lo, exec_lo, s5
	s_cbranch_vccnz .LBB11_11
; %bb.10:
	s_sub_i32 s5, s16, s17
	v_mad_u64_u32 v[6:7], null, v0, s12, 0
	v_add_nc_u32_e32 v13, s5, v0
	s_ashr_i32 s5, s12, 31
	s_delay_alu instid0(VALU_DEP_1) | instskip(NEXT) | instid1(VALU_DEP_1)
	v_mad_u64_u32 v[8:9], null, v13, s11, 0
	v_mad_u64_u32 v[10:11], null, v0, s5, v[7:8]
	s_ashr_i32 s5, s11, 31
	s_delay_alu instid0(VALU_DEP_1) | instid1(SALU_CYCLE_1)
	v_mad_u64_u32 v[11:12], null, v13, s5, v[9:10]
	v_mov_b32_e32 v7, v10
	s_delay_alu instid0(VALU_DEP_1) | instskip(NEXT) | instid1(VALU_DEP_3)
	v_lshlrev_b64 v[6:7], 2, v[6:7]
	v_mov_b32_e32 v9, v11
	s_delay_alu instid0(VALU_DEP_2) | instskip(NEXT) | instid1(VALU_DEP_2)
	v_add_co_u32 v6, vcc_lo, s6, v6
	v_lshlrev_b64 v[8:9], 2, v[8:9]
	s_delay_alu instid0(VALU_DEP_4) | instskip(NEXT) | instid1(VALU_DEP_2)
	v_add_co_ci_u32_e32 v7, vcc_lo, s7, v7, vcc_lo
	v_add_co_u32 v8, vcc_lo, s3, v8
	s_delay_alu instid0(VALU_DEP_3) | instskip(SKIP_1) | instid1(VALU_DEP_4)
	v_add_co_ci_u32_e32 v9, vcc_lo, s4, v9, vcc_lo
	v_add_co_u32 v6, vcc_lo, v6, v3
	v_add_co_ci_u32_e32 v7, vcc_lo, v7, v4, vcc_lo
	s_delay_alu instid0(VALU_DEP_4) | instskip(NEXT) | instid1(VALU_DEP_4)
	v_add_co_u32 v3, vcc_lo, v8, v3
	v_add_co_ci_u32_e32 v4, vcc_lo, v9, v4, vcc_lo
	global_load_b32 v8, v[6:7], off
	global_load_b32 v3, v[3:4], off
	s_waitcnt vmcnt(0)
	v_add_f32_e32 v3, v8, v3
	s_delay_alu instid0(VALU_DEP_1)
	v_mul_f32_e64 v3, v3, -v5
	global_store_b32 v[6:7], v3, off
.LBB11_11:
	s_mov_b32 s5, 0
.LBB11_12:
	s_delay_alu instid0(SALU_CYCLE_1)
	s_and_not1_b32 vcc_lo, exec_lo, s5
	s_cbranch_vccnz .LBB11_17
; %bb.13:
	s_and_not1_b32 vcc_lo, exec_lo, s2
	s_mov_b32 s5, -1
	s_cbranch_vccnz .LBB11_15
; %bb.14:
	v_mad_u64_u32 v[3:4], null, v2, s11, 0
	s_ashr_i32 s5, s11, 31
	s_waitcnt vmcnt(0)
	s_delay_alu instid0(VALU_DEP_1) | instskip(SKIP_1) | instid1(VALU_DEP_1)
	v_mad_u64_u32 v[6:7], null, v2, s5, v[4:5]
	s_sub_i32 s5, s16, s17
	v_dual_mov_b32 v7, 0 :: v_dual_mov_b32 v4, v6
	v_add_nc_u32_e32 v6, s5, v0
	s_ashr_i32 s5, s12, 31
	s_delay_alu instid0(VALU_DEP_2) | instskip(NEXT) | instid1(VALU_DEP_2)
	v_lshlrev_b64 v[3:4], 2, v[3:4]
	v_lshlrev_b64 v[8:9], 2, v[6:7]
	s_delay_alu instid0(VALU_DEP_2) | instskip(NEXT) | instid1(VALU_DEP_3)
	v_add_co_u32 v3, vcc_lo, s3, v3
	v_add_co_ci_u32_e32 v4, vcc_lo, s4, v4, vcc_lo
	s_delay_alu instid0(VALU_DEP_2) | instskip(NEXT) | instid1(VALU_DEP_2)
	v_add_co_u32 v3, vcc_lo, v3, v8
	v_add_co_ci_u32_e32 v4, vcc_lo, v4, v9, vcc_lo
	v_mad_u64_u32 v[8:9], null, v0, s12, 0
	global_load_b32 v11, v[3:4], off
	v_mov_b32_e32 v3, v9
	s_delay_alu instid0(VALU_DEP_1) | instskip(SKIP_2) | instid1(VALU_DEP_1)
	v_mad_u64_u32 v[9:10], null, v0, s5, v[3:4]
	v_mov_b32_e32 v3, v7
	s_mov_b32 s5, 0
	v_lshlrev_b64 v[3:4], 2, v[2:3]
	s_delay_alu instid0(VALU_DEP_3) | instskip(NEXT) | instid1(VALU_DEP_1)
	v_lshlrev_b64 v[6:7], 2, v[8:9]
	v_add_co_u32 v6, vcc_lo, s6, v6
	s_delay_alu instid0(VALU_DEP_2) | instskip(NEXT) | instid1(VALU_DEP_2)
	v_add_co_ci_u32_e32 v7, vcc_lo, s7, v7, vcc_lo
	v_add_co_u32 v3, vcc_lo, v6, v3
	s_delay_alu instid0(VALU_DEP_2)
	v_add_co_ci_u32_e32 v4, vcc_lo, v7, v4, vcc_lo
	s_waitcnt vmcnt(0)
	v_mul_f32_e64 v8, v11, -v5
	global_store_b32 v[3:4], v8, off
.LBB11_15:
	s_and_not1_b32 vcc_lo, exec_lo, s5
	s_cbranch_vccnz .LBB11_17
; %bb.16:
	v_mad_u64_u32 v[6:7], null, v0, s12, 0
	v_mad_u64_u32 v[8:9], null, v2, s11, 0
	s_ashr_i32 s5, s12, 31
	s_delay_alu instid0(VALU_DEP_1) | instskip(NEXT) | instid1(VALU_DEP_1)
	v_dual_mov_b32 v3, v7 :: v_dual_mov_b32 v4, v9
	v_mad_u64_u32 v[9:10], null, v0, s5, v[3:4]
	s_ashr_i32 s5, s11, 31
	v_mov_b32_e32 v3, 0
	s_waitcnt vmcnt(0)
	v_mad_u64_u32 v[10:11], null, v2, s5, v[4:5]
	s_sub_i32 s5, s16, s17
	s_delay_alu instid0(VALU_DEP_2) | instskip(SKIP_2) | instid1(VALU_DEP_4)
	v_dual_mov_b32 v7, v9 :: v_dual_mov_b32 v12, v3
	v_add_nc_u32_e32 v11, s5, v0
	v_lshlrev_b64 v[3:4], 2, v[2:3]
	v_mov_b32_e32 v9, v10
	s_delay_alu instid0(VALU_DEP_4) | instskip(NEXT) | instid1(VALU_DEP_4)
	v_lshlrev_b64 v[6:7], 2, v[6:7]
	v_lshlrev_b64 v[10:11], 2, v[11:12]
	s_delay_alu instid0(VALU_DEP_3) | instskip(NEXT) | instid1(VALU_DEP_3)
	v_lshlrev_b64 v[8:9], 2, v[8:9]
	v_add_co_u32 v6, vcc_lo, s6, v6
	s_delay_alu instid0(VALU_DEP_4) | instskip(NEXT) | instid1(VALU_DEP_3)
	v_add_co_ci_u32_e32 v7, vcc_lo, s7, v7, vcc_lo
	v_add_co_u32 v8, vcc_lo, s3, v8
	s_delay_alu instid0(VALU_DEP_4) | instskip(NEXT) | instid1(VALU_DEP_4)
	v_add_co_ci_u32_e32 v9, vcc_lo, s4, v9, vcc_lo
	v_add_co_u32 v3, vcc_lo, v6, v3
	s_delay_alu instid0(VALU_DEP_4) | instskip(NEXT) | instid1(VALU_DEP_4)
	v_add_co_ci_u32_e32 v4, vcc_lo, v7, v4, vcc_lo
	v_add_co_u32 v6, vcc_lo, v8, v10
	s_delay_alu instid0(VALU_DEP_4) | instskip(SKIP_4) | instid1(VALU_DEP_1)
	v_add_co_ci_u32_e32 v7, vcc_lo, v9, v11, vcc_lo
	global_load_b32 v8, v[3:4], off
	global_load_b32 v6, v[6:7], off
	s_waitcnt vmcnt(0)
	v_add_f32_e32 v6, v8, v6
	v_mul_f32_e64 v5, v6, -v5
	global_store_b32 v[3:4], v5, off
.LBB11_17:
	s_or_b32 exec_lo, exec_lo, s0
	s_mov_b32 s0, 0
.LBB11_18:
	s_delay_alu instid0(SALU_CYCLE_1)
	s_and_not1_b32 vcc_lo, exec_lo, s0
	s_cbranch_vccnz .LBB11_34
; %bb.19:
	s_mov_b32 s0, exec_lo
	v_cmpx_ge_u32_e64 v2, v0
	s_xor_b32 s0, exec_lo, s0
	s_cbranch_execz .LBB11_21
; %bb.20:
	s_waitcnt vmcnt(0)
	v_mad_u64_u32 v[4:5], null, v0, s12, 0
	s_ashr_i32 s5, s12, 31
	v_mov_b32_e32 v3, 0
	s_delay_alu instid0(VALU_DEP_2) | instskip(NEXT) | instid1(VALU_DEP_1)
	v_mov_b32_e32 v1, v5
	v_mad_u64_u32 v[5:6], null, v0, s5, v[1:2]
	s_delay_alu instid0(VALU_DEP_1) | instskip(NEXT) | instid1(VALU_DEP_4)
	v_lshlrev_b64 v[0:1], 2, v[4:5]
	v_lshlrev_b64 v[4:5], 2, v[2:3]
	s_delay_alu instid0(VALU_DEP_2) | instskip(NEXT) | instid1(VALU_DEP_3)
	v_add_co_u32 v0, vcc_lo, s6, v0
	v_add_co_ci_u32_e32 v1, vcc_lo, s7, v1, vcc_lo
	s_delay_alu instid0(VALU_DEP_2) | instskip(NEXT) | instid1(VALU_DEP_2)
	v_add_co_u32 v0, vcc_lo, v0, v4
	v_add_co_ci_u32_e32 v1, vcc_lo, v1, v5, vcc_lo
	global_store_b32 v[0:1], v3, off
                                        ; implicit-def: $vgpr0_vgpr1
                                        ; implicit-def: $vgpr2_vgpr3
.LBB11_21:
	s_and_not1_saveexec_b32 s0, s0
	s_cbranch_execz .LBB11_33
; %bb.22:
	s_waitcnt vmcnt(0)
	v_lshlrev_b64 v[4:5], 2, v[0:1]
	v_mov_b32_e32 v3, 0
	s_cmpk_lg_i32 s1, 0xb5
	s_mov_b32 s1, -1
	s_delay_alu instid0(VALU_DEP_2) | instskip(NEXT) | instid1(VALU_DEP_3)
	v_add_co_u32 v6, vcc_lo, s13, v4
	v_add_co_ci_u32_e32 v7, vcc_lo, s14, v5, vcc_lo
	global_load_b32 v1, v[6:7], off
	v_cndmask_b32_e64 v6, 0, 1, s2
	s_delay_alu instid0(VALU_DEP_1)
	v_cmp_ne_u32_e32 vcc_lo, 1, v6
	s_cbranch_scc0 .LBB11_28
; %bb.23:
	s_and_b32 vcc_lo, exec_lo, vcc_lo
	s_cbranch_vccnz .LBB11_25
; %bb.24:
	v_mad_u64_u32 v[6:7], null, v0, s11, 0
	s_ashr_i32 s1, s11, 31
	s_delay_alu instid0(VALU_DEP_1) | instid1(SALU_CYCLE_1)
	v_mad_u64_u32 v[8:9], null, v0, s1, v[7:8]
	s_ashr_i32 s1, s12, 31
	s_delay_alu instid0(VALU_DEP_1) | instskip(SKIP_1) | instid1(VALU_DEP_2)
	v_mov_b32_e32 v7, v8
	v_lshlrev_b64 v[8:9], 2, v[2:3]
	v_lshlrev_b64 v[6:7], 2, v[6:7]
	s_delay_alu instid0(VALU_DEP_1) | instskip(NEXT) | instid1(VALU_DEP_2)
	v_add_co_u32 v6, vcc_lo, s3, v6
	v_add_co_ci_u32_e32 v7, vcc_lo, s4, v7, vcc_lo
	s_delay_alu instid0(VALU_DEP_2) | instskip(NEXT) | instid1(VALU_DEP_2)
	v_add_co_u32 v6, vcc_lo, v6, v8
	v_add_co_ci_u32_e32 v7, vcc_lo, v7, v9, vcc_lo
	global_load_b32 v12, v[6:7], off
	v_mad_u64_u32 v[6:7], null, v0, s12, 0
	s_delay_alu instid0(VALU_DEP_1) | instskip(SKIP_1) | instid1(VALU_DEP_1)
	v_mad_u64_u32 v[10:11], null, v0, s1, v[7:8]
	s_mov_b32 s1, 0
	v_mov_b32_e32 v7, v10
	s_delay_alu instid0(VALU_DEP_1) | instskip(NEXT) | instid1(VALU_DEP_1)
	v_lshlrev_b64 v[6:7], 2, v[6:7]
	v_add_co_u32 v6, vcc_lo, s6, v6
	s_delay_alu instid0(VALU_DEP_2) | instskip(NEXT) | instid1(VALU_DEP_2)
	v_add_co_ci_u32_e32 v7, vcc_lo, s7, v7, vcc_lo
	v_add_co_u32 v6, vcc_lo, v6, v8
	s_delay_alu instid0(VALU_DEP_2)
	v_add_co_ci_u32_e32 v7, vcc_lo, v7, v9, vcc_lo
	s_waitcnt vmcnt(0)
	v_mul_f32_e64 v10, v12, -v1
	global_store_b32 v[6:7], v10, off
.LBB11_25:
	s_and_not1_b32 vcc_lo, exec_lo, s1
	s_cbranch_vccnz .LBB11_27
; %bb.26:
	v_mad_u64_u32 v[6:7], null, v0, s12, 0
	v_mad_u64_u32 v[8:9], null, v0, s11, 0
	s_ashr_i32 s1, s12, 31
	s_delay_alu instid0(VALU_DEP_1) | instid1(SALU_CYCLE_1)
	v_mad_u64_u32 v[10:11], null, v0, s1, v[7:8]
	s_ashr_i32 s1, s11, 31
	s_delay_alu instid0(VALU_DEP_1) | instid1(SALU_CYCLE_1)
	v_mad_u64_u32 v[11:12], null, v0, s1, v[9:10]
	v_mov_b32_e32 v7, v10
	s_delay_alu instid0(VALU_DEP_1) | instskip(NEXT) | instid1(VALU_DEP_3)
	v_lshlrev_b64 v[6:7], 2, v[6:7]
	v_mov_b32_e32 v9, v11
	v_lshlrev_b64 v[10:11], 2, v[2:3]
	s_delay_alu instid0(VALU_DEP_3) | instskip(NEXT) | instid1(VALU_DEP_3)
	v_add_co_u32 v6, vcc_lo, s6, v6
	v_lshlrev_b64 v[8:9], 2, v[8:9]
	v_add_co_ci_u32_e32 v7, vcc_lo, s7, v7, vcc_lo
	s_delay_alu instid0(VALU_DEP_2) | instskip(NEXT) | instid1(VALU_DEP_3)
	v_add_co_u32 v8, vcc_lo, s3, v8
	v_add_co_ci_u32_e32 v9, vcc_lo, s4, v9, vcc_lo
	v_add_co_u32 v6, vcc_lo, v6, v10
	s_delay_alu instid0(VALU_DEP_4) | instskip(NEXT) | instid1(VALU_DEP_4)
	v_add_co_ci_u32_e32 v7, vcc_lo, v7, v11, vcc_lo
	v_add_co_u32 v8, vcc_lo, v8, v10
	s_delay_alu instid0(VALU_DEP_4) | instskip(SKIP_4) | instid1(VALU_DEP_1)
	v_add_co_ci_u32_e32 v9, vcc_lo, v9, v11, vcc_lo
	global_load_b32 v10, v[6:7], off
	global_load_b32 v8, v[8:9], off
	s_waitcnt vmcnt(0)
	v_add_f32_e32 v8, v10, v8
	v_mul_f32_e64 v8, v8, -v1
	global_store_b32 v[6:7], v8, off
.LBB11_27:
	s_mov_b32 s1, 0
.LBB11_28:
	s_delay_alu instid0(SALU_CYCLE_1)
	s_and_not1_b32 vcc_lo, exec_lo, s1
	s_cbranch_vccnz .LBB11_33
; %bb.29:
	v_lshlrev_b64 v[6:7], 2, v[2:3]
	s_and_not1_b32 vcc_lo, exec_lo, s2
	s_mov_b32 s1, -1
	s_cbranch_vccnz .LBB11_31
; %bb.30:
	v_mad_u64_u32 v[8:9], null, v2, s11, 0
	s_ashr_i32 s1, s11, 31
	s_delay_alu instid0(VALU_DEP_1) | instskip(NEXT) | instid1(VALU_DEP_1)
	v_mov_b32_e32 v3, v9
	v_mad_u64_u32 v[9:10], null, v2, s1, v[3:4]
	s_ashr_i32 s1, s12, 31
	s_delay_alu instid0(VALU_DEP_1) | instskip(NEXT) | instid1(VALU_DEP_1)
	v_lshlrev_b64 v[8:9], 2, v[8:9]
	v_add_co_u32 v3, vcc_lo, s3, v8
	s_delay_alu instid0(VALU_DEP_2) | instskip(NEXT) | instid1(VALU_DEP_2)
	v_add_co_ci_u32_e32 v9, vcc_lo, s4, v9, vcc_lo
	v_add_co_u32 v8, vcc_lo, v3, v4
	s_delay_alu instid0(VALU_DEP_2) | instskip(SKIP_2) | instid1(VALU_DEP_1)
	v_add_co_ci_u32_e32 v9, vcc_lo, v9, v5, vcc_lo
	global_load_b32 v11, v[8:9], off
	v_mad_u64_u32 v[8:9], null, v0, s12, 0
	v_mov_b32_e32 v3, v9
	s_delay_alu instid0(VALU_DEP_1) | instskip(SKIP_1) | instid1(VALU_DEP_1)
	v_mad_u64_u32 v[9:10], null, v0, s1, v[3:4]
	s_mov_b32 s1, 0
	v_lshlrev_b64 v[8:9], 2, v[8:9]
	s_delay_alu instid0(VALU_DEP_1) | instskip(NEXT) | instid1(VALU_DEP_2)
	v_add_co_u32 v3, vcc_lo, s6, v8
	v_add_co_ci_u32_e32 v9, vcc_lo, s7, v9, vcc_lo
	s_delay_alu instid0(VALU_DEP_2) | instskip(NEXT) | instid1(VALU_DEP_2)
	v_add_co_u32 v8, vcc_lo, v3, v6
	v_add_co_ci_u32_e32 v9, vcc_lo, v9, v7, vcc_lo
	s_waitcnt vmcnt(0)
	v_mul_f32_e64 v10, v11, -v1
	global_store_b32 v[8:9], v10, off
.LBB11_31:
	s_and_not1_b32 vcc_lo, exec_lo, s1
	s_cbranch_vccnz .LBB11_33
; %bb.32:
	v_mad_u64_u32 v[8:9], null, v0, s12, 0
	v_mad_u64_u32 v[10:11], null, v2, s11, 0
	s_ashr_i32 s1, s12, 31
	s_delay_alu instid0(VALU_DEP_2) | instskip(NEXT) | instid1(VALU_DEP_2)
	v_mov_b32_e32 v3, v9
	v_mov_b32_e32 v9, v11
	s_delay_alu instid0(VALU_DEP_2)
	v_mad_u64_u32 v[11:12], null, v0, s1, v[3:4]
	s_ashr_i32 s1, s11, 31
	s_delay_alu instid0(VALU_DEP_2) | instid1(SALU_CYCLE_1)
	v_mad_u64_u32 v[12:13], null, v2, s1, v[9:10]
	s_delay_alu instid0(VALU_DEP_2) | instskip(NEXT) | instid1(VALU_DEP_2)
	v_mov_b32_e32 v9, v11
	v_mov_b32_e32 v11, v12
	s_delay_alu instid0(VALU_DEP_2) | instskip(NEXT) | instid1(VALU_DEP_2)
	v_lshlrev_b64 v[2:3], 2, v[8:9]
	v_lshlrev_b64 v[8:9], 2, v[10:11]
	s_delay_alu instid0(VALU_DEP_2) | instskip(NEXT) | instid1(VALU_DEP_3)
	v_add_co_u32 v0, vcc_lo, s6, v2
	v_add_co_ci_u32_e32 v3, vcc_lo, s7, v3, vcc_lo
	s_delay_alu instid0(VALU_DEP_3) | instskip(NEXT) | instid1(VALU_DEP_4)
	v_add_co_u32 v8, vcc_lo, s3, v8
	v_add_co_ci_u32_e32 v9, vcc_lo, s4, v9, vcc_lo
	s_delay_alu instid0(VALU_DEP_4) | instskip(NEXT) | instid1(VALU_DEP_4)
	v_add_co_u32 v2, vcc_lo, v0, v6
	v_add_co_ci_u32_e32 v3, vcc_lo, v3, v7, vcc_lo
	s_delay_alu instid0(VALU_DEP_4) | instskip(NEXT) | instid1(VALU_DEP_4)
	v_add_co_u32 v4, vcc_lo, v8, v4
	v_add_co_ci_u32_e32 v5, vcc_lo, v9, v5, vcc_lo
	global_load_b32 v0, v[2:3], off
	global_load_b32 v4, v[4:5], off
	s_waitcnt vmcnt(0)
	v_add_f32_e32 v0, v0, v4
	s_delay_alu instid0(VALU_DEP_1)
	v_mul_f32_e64 v0, v0, -v1
	global_store_b32 v[2:3], v0, off
.LBB11_33:
	s_or_b32 exec_lo, exec_lo, s0
                                        ; implicit-def: $vgpr0_vgpr1
.LBB11_34:
	s_and_not1_saveexec_b32 s0, s18
	s_cbranch_execz .LBB11_36
; %bb.35:
	s_waitcnt vmcnt(0)
	v_mov_b32_e32 v1, 0
	s_ashr_i32 s0, s12, 31
	s_delay_alu instid0(VALU_DEP_1) | instskip(NEXT) | instid1(VALU_DEP_1)
	v_lshlrev_b64 v[1:2], 2, v[0:1]
	v_add_co_u32 v3, vcc_lo, s13, v1
	s_delay_alu instid0(VALU_DEP_2) | instskip(SKIP_2) | instid1(VALU_DEP_1)
	v_add_co_ci_u32_e32 v4, vcc_lo, s14, v2, vcc_lo
	global_load_b32 v7, v[3:4], off
	v_mad_u64_u32 v[3:4], null, v0, s12, 0
	v_mad_u64_u32 v[5:6], null, v0, s0, v[4:5]
	s_delay_alu instid0(VALU_DEP_1) | instskip(NEXT) | instid1(VALU_DEP_1)
	v_mov_b32_e32 v4, v5
	v_lshlrev_b64 v[3:4], 2, v[3:4]
	s_delay_alu instid0(VALU_DEP_1) | instskip(NEXT) | instid1(VALU_DEP_2)
	v_add_co_u32 v0, vcc_lo, s6, v3
	v_add_co_ci_u32_e32 v3, vcc_lo, s7, v4, vcc_lo
	s_delay_alu instid0(VALU_DEP_2) | instskip(NEXT) | instid1(VALU_DEP_2)
	v_add_co_u32 v0, vcc_lo, v0, v1
	v_add_co_ci_u32_e32 v1, vcc_lo, v3, v2, vcc_lo
	s_waitcnt vmcnt(0)
	global_store_b32 v[0:1], v7, off
.LBB11_36:
	s_nop 0
	s_sendmsg sendmsg(MSG_DEALLOC_VGPRS)
	s_endpgm
	.section	.rodata,"a",@progbits
	.p2align	6, 0x0
	.amdhsa_kernel _ZN9rocsolver6v33100L14set_triangularIfPfTnNSt9enable_ifIXnt18rocblas_is_complexIT_EEiE4typeELi0EEEviiT0_iilPS4_lS8_il15rocblas_direct_15rocblas_storev_b
		.amdhsa_group_segment_fixed_size 0
		.amdhsa_private_segment_fixed_size 0
		.amdhsa_kernarg_size 344
		.amdhsa_user_sgpr_count 13
		.amdhsa_user_sgpr_dispatch_ptr 0
		.amdhsa_user_sgpr_queue_ptr 0
		.amdhsa_user_sgpr_kernarg_segment_ptr 1
		.amdhsa_user_sgpr_dispatch_id 0
		.amdhsa_user_sgpr_private_segment_size 0
		.amdhsa_wavefront_size32 1
		.amdhsa_uses_dynamic_stack 0
		.amdhsa_enable_private_segment 0
		.amdhsa_system_sgpr_workgroup_id_x 1
		.amdhsa_system_sgpr_workgroup_id_y 1
		.amdhsa_system_sgpr_workgroup_id_z 1
		.amdhsa_system_sgpr_workgroup_info 0
		.amdhsa_system_vgpr_workitem_id 1
		.amdhsa_next_free_vgpr 14
		.amdhsa_next_free_sgpr 22
		.amdhsa_reserve_vcc 1
		.amdhsa_float_round_mode_32 0
		.amdhsa_float_round_mode_16_64 0
		.amdhsa_float_denorm_mode_32 3
		.amdhsa_float_denorm_mode_16_64 3
		.amdhsa_dx10_clamp 1
		.amdhsa_ieee_mode 1
		.amdhsa_fp16_overflow 0
		.amdhsa_workgroup_processor_mode 1
		.amdhsa_memory_ordered 1
		.amdhsa_forward_progress 0
		.amdhsa_shared_vgpr_count 0
		.amdhsa_exception_fp_ieee_invalid_op 0
		.amdhsa_exception_fp_denorm_src 0
		.amdhsa_exception_fp_ieee_div_zero 0
		.amdhsa_exception_fp_ieee_overflow 0
		.amdhsa_exception_fp_ieee_underflow 0
		.amdhsa_exception_fp_ieee_inexact 0
		.amdhsa_exception_int_div_zero 0
	.end_amdhsa_kernel
	.section	.text._ZN9rocsolver6v33100L14set_triangularIfPfTnNSt9enable_ifIXnt18rocblas_is_complexIT_EEiE4typeELi0EEEviiT0_iilPS4_lS8_il15rocblas_direct_15rocblas_storev_b,"axG",@progbits,_ZN9rocsolver6v33100L14set_triangularIfPfTnNSt9enable_ifIXnt18rocblas_is_complexIT_EEiE4typeELi0EEEviiT0_iilPS4_lS8_il15rocblas_direct_15rocblas_storev_b,comdat
.Lfunc_end11:
	.size	_ZN9rocsolver6v33100L14set_triangularIfPfTnNSt9enable_ifIXnt18rocblas_is_complexIT_EEiE4typeELi0EEEviiT0_iilPS4_lS8_il15rocblas_direct_15rocblas_storev_b, .Lfunc_end11-_ZN9rocsolver6v33100L14set_triangularIfPfTnNSt9enable_ifIXnt18rocblas_is_complexIT_EEiE4typeELi0EEEviiT0_iilPS4_lS8_il15rocblas_direct_15rocblas_storev_b
                                        ; -- End function
	.section	.AMDGPU.csdata,"",@progbits
; Kernel info:
; codeLenInByte = 2524
; NumSgprs: 24
; NumVgprs: 14
; ScratchSize: 0
; MemoryBound: 0
; FloatMode: 240
; IeeeMode: 1
; LDSByteSize: 0 bytes/workgroup (compile time only)
; SGPRBlocks: 2
; VGPRBlocks: 1
; NumSGPRsForWavesPerEU: 24
; NumVGPRsForWavesPerEU: 14
; Occupancy: 16
; WaveLimiterHint : 0
; COMPUTE_PGM_RSRC2:SCRATCH_EN: 0
; COMPUTE_PGM_RSRC2:USER_SGPR: 13
; COMPUTE_PGM_RSRC2:TRAP_HANDLER: 0
; COMPUTE_PGM_RSRC2:TGID_X_EN: 1
; COMPUTE_PGM_RSRC2:TGID_Y_EN: 1
; COMPUTE_PGM_RSRC2:TGID_Z_EN: 1
; COMPUTE_PGM_RSRC2:TIDIG_COMP_CNT: 1
	.section	.text._ZN9rocsolver6v33100L7set_tauIfEEviPT_l,"axG",@progbits,_ZN9rocsolver6v33100L7set_tauIfEEviPT_l,comdat
	.globl	_ZN9rocsolver6v33100L7set_tauIfEEviPT_l ; -- Begin function _ZN9rocsolver6v33100L7set_tauIfEEviPT_l
	.p2align	8
	.type	_ZN9rocsolver6v33100L7set_tauIfEEviPT_l,@function
_ZN9rocsolver6v33100L7set_tauIfEEviPT_l: ; @_ZN9rocsolver6v33100L7set_tauIfEEviPT_l
; %bb.0:
	s_clause 0x1
	s_load_b32 s2, s[0:1], 0x24
	s_load_b32 s3, s[0:1], 0x0
	s_waitcnt lgkmcnt(0)
	s_and_b32 s2, s2, 0xffff
	s_delay_alu instid0(SALU_CYCLE_1) | instskip(SKIP_1) | instid1(VALU_DEP_1)
	v_mad_u64_u32 v[1:2], null, s14, s2, v[0:1]
	s_mov_b32 s2, exec_lo
	v_cmpx_gt_u32_e64 s3, v1
	s_cbranch_execz .LBB12_2
; %bb.1:
	s_load_b128 s[0:3], s[0:1], 0x8
	v_mov_b32_e32 v2, 0
	s_delay_alu instid0(VALU_DEP_1)
	v_lshlrev_b64 v[0:1], 2, v[1:2]
	s_waitcnt lgkmcnt(0)
	s_mul_i32 s3, s15, s3
	s_mul_hi_u32 s4, s15, s2
	s_mul_i32 s2, s15, s2
	s_add_i32 s3, s4, s3
	s_delay_alu instid0(SALU_CYCLE_1) | instskip(NEXT) | instid1(SALU_CYCLE_1)
	s_lshl_b64 s[2:3], s[2:3], 2
	s_add_u32 s0, s0, s2
	s_addc_u32 s1, s1, s3
	v_add_co_u32 v0, vcc_lo, s0, v0
	v_add_co_ci_u32_e32 v1, vcc_lo, s1, v1, vcc_lo
	global_load_b32 v2, v[0:1], off
	s_waitcnt vmcnt(0)
	v_xor_b32_e32 v2, 0x80000000, v2
	global_store_b32 v[0:1], v2, off
.LBB12_2:
	s_nop 0
	s_sendmsg sendmsg(MSG_DEALLOC_VGPRS)
	s_endpgm
	.section	.rodata,"a",@progbits
	.p2align	6, 0x0
	.amdhsa_kernel _ZN9rocsolver6v33100L7set_tauIfEEviPT_l
		.amdhsa_group_segment_fixed_size 0
		.amdhsa_private_segment_fixed_size 0
		.amdhsa_kernarg_size 280
		.amdhsa_user_sgpr_count 14
		.amdhsa_user_sgpr_dispatch_ptr 0
		.amdhsa_user_sgpr_queue_ptr 0
		.amdhsa_user_sgpr_kernarg_segment_ptr 1
		.amdhsa_user_sgpr_dispatch_id 0
		.amdhsa_user_sgpr_private_segment_size 0
		.amdhsa_wavefront_size32 1
		.amdhsa_uses_dynamic_stack 0
		.amdhsa_enable_private_segment 0
		.amdhsa_system_sgpr_workgroup_id_x 1
		.amdhsa_system_sgpr_workgroup_id_y 1
		.amdhsa_system_sgpr_workgroup_id_z 0
		.amdhsa_system_sgpr_workgroup_info 0
		.amdhsa_system_vgpr_workitem_id 0
		.amdhsa_next_free_vgpr 3
		.amdhsa_next_free_sgpr 16
		.amdhsa_reserve_vcc 1
		.amdhsa_float_round_mode_32 0
		.amdhsa_float_round_mode_16_64 0
		.amdhsa_float_denorm_mode_32 3
		.amdhsa_float_denorm_mode_16_64 3
		.amdhsa_dx10_clamp 1
		.amdhsa_ieee_mode 1
		.amdhsa_fp16_overflow 0
		.amdhsa_workgroup_processor_mode 1
		.amdhsa_memory_ordered 1
		.amdhsa_forward_progress 0
		.amdhsa_shared_vgpr_count 0
		.amdhsa_exception_fp_ieee_invalid_op 0
		.amdhsa_exception_fp_denorm_src 0
		.amdhsa_exception_fp_ieee_div_zero 0
		.amdhsa_exception_fp_ieee_overflow 0
		.amdhsa_exception_fp_ieee_underflow 0
		.amdhsa_exception_fp_ieee_inexact 0
		.amdhsa_exception_int_div_zero 0
	.end_amdhsa_kernel
	.section	.text._ZN9rocsolver6v33100L7set_tauIfEEviPT_l,"axG",@progbits,_ZN9rocsolver6v33100L7set_tauIfEEviPT_l,comdat
.Lfunc_end12:
	.size	_ZN9rocsolver6v33100L7set_tauIfEEviPT_l, .Lfunc_end12-_ZN9rocsolver6v33100L7set_tauIfEEviPT_l
                                        ; -- End function
	.section	.AMDGPU.csdata,"",@progbits
; Kernel info:
; codeLenInByte = 172
; NumSgprs: 18
; NumVgprs: 3
; ScratchSize: 0
; MemoryBound: 0
; FloatMode: 240
; IeeeMode: 1
; LDSByteSize: 0 bytes/workgroup (compile time only)
; SGPRBlocks: 2
; VGPRBlocks: 0
; NumSGPRsForWavesPerEU: 18
; NumVGPRsForWavesPerEU: 3
; Occupancy: 16
; WaveLimiterHint : 0
; COMPUTE_PGM_RSRC2:SCRATCH_EN: 0
; COMPUTE_PGM_RSRC2:USER_SGPR: 14
; COMPUTE_PGM_RSRC2:TRAP_HANDLER: 0
; COMPUTE_PGM_RSRC2:TGID_X_EN: 1
; COMPUTE_PGM_RSRC2:TGID_Y_EN: 1
; COMPUTE_PGM_RSRC2:TGID_Z_EN: 0
; COMPUTE_PGM_RSRC2:TIDIG_COMP_CNT: 0
	.section	.text._ZN9rocsolver6v33100L20larft_kernel_forwardIfPfEEv15rocblas_storev_iiT0_iilPT_lS6_il,"axG",@progbits,_ZN9rocsolver6v33100L20larft_kernel_forwardIfPfEEv15rocblas_storev_iiT0_iilPT_lS6_il,comdat
	.globl	_ZN9rocsolver6v33100L20larft_kernel_forwardIfPfEEv15rocblas_storev_iiT0_iilPT_lS6_il ; -- Begin function _ZN9rocsolver6v33100L20larft_kernel_forwardIfPfEEv15rocblas_storev_iiT0_iilPT_lS6_il
	.p2align	8
	.type	_ZN9rocsolver6v33100L20larft_kernel_forwardIfPfEEv15rocblas_storev_iiT0_iilPT_lS6_il,@function
_ZN9rocsolver6v33100L20larft_kernel_forwardIfPfEEv15rocblas_storev_iiT0_iilPT_lS6_il: ; @_ZN9rocsolver6v33100L20larft_kernel_forwardIfPfEEv15rocblas_storev_iiT0_iilPT_lS6_il
; %bb.0:
	s_clause 0x4
	s_load_b64 s[20:21], s[0:1], 0x48
	s_load_b128 s[16:19], s[0:1], 0x0
	s_load_b32 s13, s[0:1], 0x5c
	s_load_b256 s[4:11], s[0:1], 0x20
	s_load_b32 s3, s[0:1], 0x40
	s_ashr_i32 s12, s15, 31
	v_lshlrev_b32_e32 v6, 2, v0
	s_waitcnt lgkmcnt(0)
	s_mul_i32 s2, s15, s21
	s_mul_hi_u32 s14, s15, s20
	s_mul_i32 s19, s12, s20
	s_add_i32 s2, s14, s2
	s_mul_i32 s20, s15, s20
	s_add_i32 s21, s2, s19
	v_cmp_gt_i32_e64 s2, s18, v0
	s_lshl_b64 s[20:21], s[20:21], 2
	s_and_b32 s14, s13, 0xffff
	s_add_u32 s19, s10, s20
	s_addc_u32 s24, s11, s21
	s_and_saveexec_b32 s10, s2
	s_cbranch_execz .LBB13_5
; %bb.1:
	v_add_nc_u32_e32 v1, 4, v6
	s_lshl_b32 s13, s18, 2
	v_mov_b32_e32 v5, v0
	s_add_i32 s20, s13, 4
	s_add_i32 s21, s3, 1
	v_mul_lo_u32 v3, s18, v1
	v_mad_u64_u32 v[1:2], null, v0, s3, v[0:1]
	s_mov_b32 s11, 0
	s_mul_i32 s20, s20, s14
	s_mul_i32 s21, s21, s14
	s_delay_alu instid0(VALU_DEP_2)
	v_add3_u32 v4, v3, v6, 0
	.p2align	6
.LBB13_2:                               ; =>This Loop Header: Depth=1
                                        ;     Child Loop BB13_3 Depth 2
	s_delay_alu instid0(VALU_DEP_1)
	v_dual_mov_b32 v2, v1 :: v_dual_mov_b32 v7, v4
	v_mov_b32_e32 v8, v5
	s_mov_b32 s22, 0
	.p2align	6
.LBB13_3:                               ;   Parent Loop BB13_2 Depth=1
                                        ; =>  This Inner Loop Header: Depth=2
	s_delay_alu instid0(VALU_DEP_2) | instskip(NEXT) | instid1(VALU_DEP_2)
	v_ashrrev_i32_e32 v3, 31, v2
	v_add_nc_u32_e32 v8, 1, v8
	s_delay_alu instid0(VALU_DEP_2) | instskip(SKIP_1) | instid1(VALU_DEP_2)
	v_lshlrev_b64 v[9:10], 2, v[2:3]
	v_add_nc_u32_e32 v2, s3, v2
	v_add_co_u32 v9, vcc_lo, s19, v9
	s_delay_alu instid0(VALU_DEP_3)
	v_add_co_ci_u32_e32 v10, vcc_lo, s24, v10, vcc_lo
	v_cmp_le_i32_e32 vcc_lo, s18, v8
	global_load_b32 v3, v[9:10], off
	s_or_b32 s22, vcc_lo, s22
	s_waitcnt vmcnt(0)
	ds_store_b32 v7, v3
	v_add_nc_u32_e32 v7, s13, v7
	s_and_not1_b32 exec_lo, exec_lo, s22
	s_cbranch_execnz .LBB13_3
; %bb.4:                                ;   in Loop: Header=BB13_2 Depth=1
	s_or_b32 exec_lo, exec_lo, s22
	v_add_nc_u32_e32 v5, s14, v5
	v_add_nc_u32_e32 v4, s20, v4
	;; [unrolled: 1-line block ×3, first 2 shown]
	s_delay_alu instid0(VALU_DEP_3) | instskip(SKIP_1) | instid1(SALU_CYCLE_1)
	v_cmp_le_i32_e32 vcc_lo, s18, v5
	s_or_b32 s11, vcc_lo, s11
	s_and_not1_b32 exec_lo, exec_lo, s11
	s_cbranch_execnz .LBB13_2
.LBB13_5:
	s_or_b32 exec_lo, exec_lo, s10
	s_cmp_lt_i32 s18, 2
	s_waitcnt lgkmcnt(0)
	s_barrier
	buffer_gl0_inv
	s_cbranch_scc1 .LBB13_30
; %bb.6:
	s_load_b128 s[20:23], s[0:1], 0x10
	s_mul_i32 s1, s15, s9
	s_mul_hi_u32 s10, s15, s8
	s_mul_i32 s11, s12, s8
	s_add_i32 s1, s10, s1
	s_mul_i32 s0, s15, s8
	s_add_i32 s1, s1, s11
	s_mul_i32 s11, s5, s15
	s_lshl_b64 s[0:1], s[0:1], 2
	s_mul_hi_u32 s10, s4, s15
	s_mul_i32 s12, s4, s12
	v_add_nc_u32_e32 v3, 4, v6
	v_add_nc_u32_e32 v9, 0, v6
	s_mov_b32 s9, 0
	s_mov_b32 s8, 1
	s_delay_alu instid0(VALU_DEP_2)
	v_mul_lo_u32 v3, s18, v3
	s_waitcnt lgkmcnt(0)
	s_ashr_i32 s5, s22, 31
	s_add_u32 s25, s6, s0
	s_addc_u32 s26, s7, s1
	s_lshl_b32 s27, s18, 2
	s_mul_i32 s0, s4, s15
	s_add_i32 s15, s27, 0
	s_cmpk_lg_i32 s16, 0xb5
	s_mov_b32 s4, s22
	s_cselect_b32 s16, -1, 0
	s_add_i32 s1, s10, s12
	s_mov_b32 s6, s23
	s_add_i32 s1, s1, s11
	v_mul_lo_u32 v7, v0, s23
	s_lshl_b64 s[0:1], s[0:1], 2
	v_add3_u32 v8, v3, v6, 0
	s_add_u32 s22, s0, 4
	s_addc_u32 s28, s1, 0
	s_lshl_b64 s[10:11], s[4:5], 2
	v_add_co_u32 v1, s4, s0, v6
	s_add_u32 s29, s20, s10
	s_addc_u32 s30, s21, s11
	s_ashr_i32 s7, s23, 31
	v_add_co_ci_u32_e64 v2, null, s1, 0, s4
	s_lshl_b32 s4, s23, 1
	s_lshl_b32 s31, s14, 2
	s_lshl_b64 s[6:7], s[6:7], 2
	s_add_u32 s0, s0, s10
	s_addc_u32 s1, s1, s11
	s_add_u32 s0, s0, s20
	s_addc_u32 s1, s1, s21
	s_add_u32 s20, s0, 8
	s_addc_u32 s21, s1, 0
	s_add_i32 s34, s27, 4
	s_mul_i32 s33, s23, s14
	s_mul_i32 s34, s34, s14
	s_mov_b32 s10, s23
	s_branch .LBB13_8
.LBB13_7:                               ;   in Loop: Header=BB13_8 Depth=1
	s_or_b32 exec_lo, exec_lo, s0
	s_add_i32 s8, s8, 1
	s_add_u32 s22, s22, 4
	s_addc_u32 s28, s28, 0
	s_add_i32 s4, s4, s23
	s_add_u32 s20, s20, 4
	s_addc_u32 s21, s21, 0
	s_add_i32 s10, s10, s23
	s_cmp_eq_u32 s8, s18
	s_waitcnt lgkmcnt(0)
	s_barrier
	buffer_gl0_inv
	s_cbranch_scc1 .LBB13_30
.LBB13_8:                               ; =>This Loop Header: Depth=1
                                        ;     Child Loop BB13_12 Depth 2
                                        ;       Child Loop BB13_14 Depth 3
                                        ;     Child Loop BB13_21 Depth 2
                                        ;       Child Loop BB13_23 Depth 3
	;; [unrolled: 2-line block ×3, first 2 shown]
	s_mul_i32 s0, s8, s18
	s_not_b32 s36, s8
	s_lshl_b32 s0, s0, 2
	s_add_i32 s36, s36, s17
	s_add_i32 s35, s15, s0
	v_cmp_gt_u32_e64 s0, s8, v0
	s_and_b32 vcc_lo, exec_lo, s16
	s_mov_b32 s1, -1
	s_cbranch_vccz .LBB13_16
; %bb.9:                                ;   in Loop: Header=BB13_8 Depth=1
	s_delay_alu instid0(VALU_DEP_1)
	s_and_saveexec_b32 s11, s0
	s_cbranch_execz .LBB13_15
; %bb.10:                               ;   in Loop: Header=BB13_8 Depth=1
	s_ashr_i32 s5, s4, 31
	v_dual_mov_b32 v4, v2 :: v_dual_mov_b32 v3, v1
	s_lshl_b64 s[0:1], s[4:5], 2
	v_mov_b32_e32 v5, v0
	s_add_u32 s12, s29, s0
	s_addc_u32 s13, s30, s1
	s_cmp_gt_i32 s36, 0
	s_mov_b32 s38, 0
	s_cselect_b32 s5, -1, 0
	s_lshl_b64 s[0:1], s[8:9], 2
	s_delay_alu instid0(SALU_CYCLE_1)
	s_add_u32 s0, s25, s0
	s_addc_u32 s1, s26, s1
	s_load_b32 s37, s[0:1], 0x0
	s_set_inst_prefetch_distance 0x1
	s_branch .LBB13_12
	.p2align	6
.LBB13_11:                              ;   in Loop: Header=BB13_12 Depth=2
	v_lshlrev_b32_e32 v11, 2, v5
	v_add_nc_u32_e32 v5, s14, v5
	v_add_co_u32 v3, s0, v3, s31
	s_delay_alu instid0(VALU_DEP_1) | instskip(NEXT) | instid1(VALU_DEP_4)
	v_add_co_ci_u32_e64 v4, s0, 0, v4, s0
	v_add_nc_u32_e32 v12, s35, v11
	s_delay_alu instid0(VALU_DEP_4)
	v_cmp_le_u32_e32 vcc_lo, s8, v5
	ds_load_b32 v12, v12
	s_or_b32 s38, vcc_lo, s38
	s_waitcnt lgkmcnt(0)
	v_dual_fmac_f32 v12, s37, v10 :: v_dual_add_nc_u32 v11, 0, v11
	ds_store_b32 v11, v12
	s_and_not1_b32 exec_lo, exec_lo, s38
	s_cbranch_execz .LBB13_15
.LBB13_12:                              ;   Parent Loop BB13_8 Depth=1
                                        ; =>  This Loop Header: Depth=2
                                        ;       Child Loop BB13_14 Depth 3
	v_mov_b32_e32 v10, 0
	s_and_not1_b32 vcc_lo, exec_lo, s5
	s_cbranch_vccnz .LBB13_11
; %bb.13:                               ;   in Loop: Header=BB13_12 Depth=2
	s_mov_b32 s39, 0
	s_mov_b64 s[0:1], s[12:13]
.LBB13_14:                              ;   Parent Loop BB13_8 Depth=1
                                        ;     Parent Loop BB13_12 Depth=2
                                        ; =>    This Inner Loop Header: Depth=3
	s_delay_alu instid0(SALU_CYCLE_1)
	v_add_co_u32 v11, vcc_lo, s0, v3
	v_add_co_ci_u32_e32 v12, vcc_lo, s1, v4, vcc_lo
	s_add_u32 s40, s0, s22
	s_addc_u32 s41, s1, s28
	s_add_i32 s39, s39, 1
	global_load_b32 v11, v[11:12], off
	s_load_b32 s40, s[40:41], 0x0
	s_add_u32 s0, s0, s6
	s_addc_u32 s1, s1, s7
	s_cmp_ge_i32 s39, s36
	s_waitcnt vmcnt(0) lgkmcnt(0)
	v_fmac_f32_e32 v10, s40, v11
	s_cbranch_scc0 .LBB13_14
	s_branch .LBB13_11
.LBB13_15:                              ;   in Loop: Header=BB13_8 Depth=1
	s_set_inst_prefetch_distance 0x2
	s_or_b32 exec_lo, exec_lo, s11
	s_mov_b32 s1, 0
.LBB13_16:                              ;   in Loop: Header=BB13_8 Depth=1
	s_delay_alu instid0(SALU_CYCLE_1)
	s_and_not1_b32 vcc_lo, exec_lo, s1
	s_cbranch_vccnz .LBB13_25
; %bb.17:                               ;   in Loop: Header=BB13_8 Depth=1
	s_mov_b32 s5, exec_lo
	v_cmpx_gt_u32_e64 s8, v0
	s_cbranch_execz .LBB13_24
; %bb.18:                               ;   in Loop: Header=BB13_8 Depth=1
	s_ashr_i32 s11, s10, 31
	v_dual_mov_b32 v3, v7 :: v_dual_mov_b32 v10, v0
	s_lshl_b64 s[0:1], s[10:11], 2
	s_mov_b32 s38, 0
	s_add_u32 s0, s20, s0
	s_addc_u32 s1, s21, s1
	s_cmp_gt_i32 s36, 0
	s_cselect_b32 s11, -1, 0
	s_lshl_b64 s[12:13], s[8:9], 2
	s_delay_alu instid0(SALU_CYCLE_1)
	s_add_u32 s12, s25, s12
	s_addc_u32 s13, s26, s13
	s_load_b32 s37, s[12:13], 0x0
	s_set_inst_prefetch_distance 0x1
	s_branch .LBB13_21
	.p2align	6
.LBB13_19:                              ;   in Loop: Header=BB13_21 Depth=2
	v_mov_b32_e32 v11, 0
.LBB13_20:                              ;   in Loop: Header=BB13_21 Depth=2
	v_lshlrev_b32_e32 v4, 2, v10
	v_add_nc_u32_e32 v10, s14, v10
	v_add_nc_u32_e32 v3, s33, v3
	s_delay_alu instid0(VALU_DEP_3) | instskip(NEXT) | instid1(VALU_DEP_3)
	v_add_nc_u32_e32 v5, s35, v4
	v_cmp_le_u32_e32 vcc_lo, s8, v10
	ds_load_b32 v5, v5
	s_or_b32 s38, vcc_lo, s38
	s_waitcnt lgkmcnt(0)
	v_dual_fmac_f32 v5, s37, v11 :: v_dual_add_nc_u32 v4, 0, v4
	ds_store_b32 v4, v5
	s_and_not1_b32 exec_lo, exec_lo, s38
	s_cbranch_execz .LBB13_24
.LBB13_21:                              ;   Parent Loop BB13_8 Depth=1
                                        ; =>  This Loop Header: Depth=2
                                        ;       Child Loop BB13_23 Depth 3
	s_and_not1_b32 vcc_lo, exec_lo, s11
	s_cbranch_vccnz .LBB13_19
; %bb.22:                               ;   in Loop: Header=BB13_21 Depth=2
	v_ashrrev_i32_e32 v4, 31, v3
	v_mov_b32_e32 v11, 0
	s_mov_b32 s39, 0
	s_mov_b64 s[12:13], s[0:1]
	s_delay_alu instid0(VALU_DEP_2) | instskip(NEXT) | instid1(VALU_DEP_1)
	v_lshlrev_b64 v[4:5], 2, v[3:4]
	v_add_co_u32 v4, vcc_lo, s20, v4
	s_delay_alu instid0(VALU_DEP_2)
	v_add_co_ci_u32_e32 v5, vcc_lo, s21, v5, vcc_lo
.LBB13_23:                              ;   Parent Loop BB13_8 Depth=1
                                        ;     Parent Loop BB13_21 Depth=2
                                        ; =>    This Inner Loop Header: Depth=3
	global_load_b32 v12, v[4:5], off
	s_load_b32 s40, s[12:13], 0x0
	v_add_co_u32 v4, vcc_lo, v4, 4
	s_add_i32 s39, s39, 1
	v_add_co_ci_u32_e32 v5, vcc_lo, 0, v5, vcc_lo
	s_add_u32 s12, s12, 4
	s_addc_u32 s13, s13, 0
	s_cmp_ge_i32 s39, s36
	s_waitcnt vmcnt(0) lgkmcnt(0)
	v_fmac_f32_e32 v11, s40, v12
	s_cbranch_scc0 .LBB13_23
	s_branch .LBB13_20
.LBB13_24:                              ;   in Loop: Header=BB13_8 Depth=1
	s_set_inst_prefetch_distance 0x2
	s_or_b32 exec_lo, exec_lo, s5
.LBB13_25:                              ;   in Loop: Header=BB13_8 Depth=1
	s_delay_alu instid0(SALU_CYCLE_1)
	s_mov_b32 s0, exec_lo
	s_waitcnt lgkmcnt(0)
	s_barrier
	buffer_gl0_inv
	v_cmpx_gt_u32_e64 s8, v0
	s_cbranch_execz .LBB13_7
; %bb.26:                               ;   in Loop: Header=BB13_8 Depth=1
	v_dual_mov_b32 v3, v9 :: v_dual_mov_b32 v4, v8
	v_mov_b32_e32 v5, v0
	s_mov_b32 s1, 0
	.p2align	6
.LBB13_27:                              ;   Parent Loop BB13_8 Depth=1
                                        ; =>  This Loop Header: Depth=2
                                        ;       Child Loop BB13_28 Depth 3
	s_delay_alu instid0(VALU_DEP_2) | instskip(NEXT) | instid1(VALU_DEP_2)
	v_dual_mov_b32 v10, 0 :: v_dual_mov_b32 v11, v3
	v_dual_mov_b32 v12, v4 :: v_dual_mov_b32 v13, v5
	s_mov_b32 s5, 0
.LBB13_28:                              ;   Parent Loop BB13_8 Depth=1
                                        ;     Parent Loop BB13_27 Depth=2
                                        ; =>    This Inner Loop Header: Depth=3
	ds_load_b32 v14, v12
	ds_load_b32 v15, v11
	v_add_nc_u32_e32 v13, 1, v13
	v_add_nc_u32_e32 v12, s27, v12
	;; [unrolled: 1-line block ×3, first 2 shown]
	s_waitcnt lgkmcnt(0)
	v_fmac_f32_e32 v10, v14, v15
	v_cmp_le_u32_e32 vcc_lo, s8, v13
	s_or_b32 s5, vcc_lo, s5
	s_delay_alu instid0(SALU_CYCLE_1)
	s_and_not1_b32 exec_lo, exec_lo, s5
	s_cbranch_execnz .LBB13_28
; %bb.29:                               ;   in Loop: Header=BB13_27 Depth=2
	s_or_b32 exec_lo, exec_lo, s5
	v_lshl_add_u32 v11, v5, 2, s35
	v_add_nc_u32_e32 v5, s14, v5
	v_add_nc_u32_e32 v4, s34, v4
	;; [unrolled: 1-line block ×3, first 2 shown]
	ds_store_b32 v11, v10
	v_cmp_le_u32_e32 vcc_lo, s8, v5
	s_or_b32 s1, vcc_lo, s1
	s_delay_alu instid0(SALU_CYCLE_1)
	s_and_not1_b32 exec_lo, exec_lo, s1
	s_cbranch_execnz .LBB13_27
	s_branch .LBB13_7
.LBB13_30:
	s_and_saveexec_b32 s0, s2
	s_cbranch_execz .LBB13_35
; %bb.31:
	v_add_nc_u32_e32 v1, 4, v6
	s_lshl_b32 s2, s18, 2
	s_add_i32 s1, s3, 1
	s_add_i32 s5, s2, 4
	s_mul_i32 s1, s1, s14
	v_mul_lo_u32 v3, s18, v1
	v_mad_u64_u32 v[1:2], null, v0, s3, v[0:1]
	s_mov_b32 s4, 0
	s_mul_i32 s5, s5, s14
	s_delay_alu instid0(VALU_DEP_2)
	v_add3_u32 v4, v3, v6, 0
	.p2align	6
.LBB13_32:                              ; =>This Loop Header: Depth=1
                                        ;     Child Loop BB13_33 Depth 2
	s_delay_alu instid0(VALU_DEP_1)
	v_dual_mov_b32 v5, v4 :: v_dual_mov_b32 v2, v1
	v_mov_b32_e32 v6, v0
	s_mov_b32 s6, 0
	.p2align	6
.LBB13_33:                              ;   Parent Loop BB13_32 Depth=1
                                        ; =>  This Inner Loop Header: Depth=2
	ds_load_b32 v9, v5
	v_ashrrev_i32_e32 v3, 31, v2
	v_add_nc_u32_e32 v6, 1, v6
	v_add_nc_u32_e32 v5, s2, v5
	s_delay_alu instid0(VALU_DEP_3) | instskip(NEXT) | instid1(VALU_DEP_3)
	v_lshlrev_b64 v[7:8], 2, v[2:3]
	v_cmp_le_i32_e32 vcc_lo, s18, v6
	v_add_nc_u32_e32 v2, s3, v2
	s_or_b32 s6, vcc_lo, s6
	s_delay_alu instid0(VALU_DEP_3) | instskip(NEXT) | instid1(VALU_DEP_1)
	v_add_co_u32 v7, s0, s19, v7
	v_add_co_ci_u32_e64 v8, s0, s24, v8, s0
	s_waitcnt lgkmcnt(0)
	global_store_b32 v[7:8], v9, off
	s_and_not1_b32 exec_lo, exec_lo, s6
	s_cbranch_execnz .LBB13_33
; %bb.34:                               ;   in Loop: Header=BB13_32 Depth=1
	s_or_b32 exec_lo, exec_lo, s6
	v_add_nc_u32_e32 v0, s14, v0
	v_add_nc_u32_e32 v1, s1, v1
	;; [unrolled: 1-line block ×3, first 2 shown]
	s_delay_alu instid0(VALU_DEP_3) | instskip(SKIP_1) | instid1(SALU_CYCLE_1)
	v_cmp_le_i32_e32 vcc_lo, s18, v0
	s_or_b32 s4, vcc_lo, s4
	s_and_not1_b32 exec_lo, exec_lo, s4
	s_cbranch_execnz .LBB13_32
.LBB13_35:
	s_nop 0
	s_sendmsg sendmsg(MSG_DEALLOC_VGPRS)
	s_endpgm
	.section	.rodata,"a",@progbits
	.p2align	6, 0x0
	.amdhsa_kernel _ZN9rocsolver6v33100L20larft_kernel_forwardIfPfEEv15rocblas_storev_iiT0_iilPT_lS6_il
		.amdhsa_group_segment_fixed_size 0
		.amdhsa_private_segment_fixed_size 0
		.amdhsa_kernarg_size 336
		.amdhsa_user_sgpr_count 14
		.amdhsa_user_sgpr_dispatch_ptr 0
		.amdhsa_user_sgpr_queue_ptr 0
		.amdhsa_user_sgpr_kernarg_segment_ptr 1
		.amdhsa_user_sgpr_dispatch_id 0
		.amdhsa_user_sgpr_private_segment_size 0
		.amdhsa_wavefront_size32 1
		.amdhsa_uses_dynamic_stack 0
		.amdhsa_enable_private_segment 0
		.amdhsa_system_sgpr_workgroup_id_x 1
		.amdhsa_system_sgpr_workgroup_id_y 1
		.amdhsa_system_sgpr_workgroup_id_z 0
		.amdhsa_system_sgpr_workgroup_info 0
		.amdhsa_system_vgpr_workitem_id 0
		.amdhsa_next_free_vgpr 16
		.amdhsa_next_free_sgpr 42
		.amdhsa_reserve_vcc 1
		.amdhsa_float_round_mode_32 0
		.amdhsa_float_round_mode_16_64 0
		.amdhsa_float_denorm_mode_32 3
		.amdhsa_float_denorm_mode_16_64 3
		.amdhsa_dx10_clamp 1
		.amdhsa_ieee_mode 1
		.amdhsa_fp16_overflow 0
		.amdhsa_workgroup_processor_mode 1
		.amdhsa_memory_ordered 1
		.amdhsa_forward_progress 0
		.amdhsa_shared_vgpr_count 0
		.amdhsa_exception_fp_ieee_invalid_op 0
		.amdhsa_exception_fp_denorm_src 0
		.amdhsa_exception_fp_ieee_div_zero 0
		.amdhsa_exception_fp_ieee_overflow 0
		.amdhsa_exception_fp_ieee_underflow 0
		.amdhsa_exception_fp_ieee_inexact 0
		.amdhsa_exception_int_div_zero 0
	.end_amdhsa_kernel
	.section	.text._ZN9rocsolver6v33100L20larft_kernel_forwardIfPfEEv15rocblas_storev_iiT0_iilPT_lS6_il,"axG",@progbits,_ZN9rocsolver6v33100L20larft_kernel_forwardIfPfEEv15rocblas_storev_iiT0_iilPT_lS6_il,comdat
.Lfunc_end13:
	.size	_ZN9rocsolver6v33100L20larft_kernel_forwardIfPfEEv15rocblas_storev_iiT0_iilPT_lS6_il, .Lfunc_end13-_ZN9rocsolver6v33100L20larft_kernel_forwardIfPfEEv15rocblas_storev_iiT0_iilPT_lS6_il
                                        ; -- End function
	.section	.AMDGPU.csdata,"",@progbits
; Kernel info:
; codeLenInByte = 1640
; NumSgprs: 44
; NumVgprs: 16
; ScratchSize: 0
; MemoryBound: 0
; FloatMode: 240
; IeeeMode: 1
; LDSByteSize: 0 bytes/workgroup (compile time only)
; SGPRBlocks: 5
; VGPRBlocks: 1
; NumSGPRsForWavesPerEU: 44
; NumVGPRsForWavesPerEU: 16
; Occupancy: 16
; WaveLimiterHint : 0
; COMPUTE_PGM_RSRC2:SCRATCH_EN: 0
; COMPUTE_PGM_RSRC2:USER_SGPR: 14
; COMPUTE_PGM_RSRC2:TRAP_HANDLER: 0
; COMPUTE_PGM_RSRC2:TGID_X_EN: 1
; COMPUTE_PGM_RSRC2:TGID_Y_EN: 1
; COMPUTE_PGM_RSRC2:TGID_Z_EN: 0
; COMPUTE_PGM_RSRC2:TIDIG_COMP_CNT: 0
	.section	.text._ZN9rocsolver6v33100L21larft_kernel_backwardIfPfEEv15rocblas_storev_iiT0_iilPT_lS6_il,"axG",@progbits,_ZN9rocsolver6v33100L21larft_kernel_backwardIfPfEEv15rocblas_storev_iiT0_iilPT_lS6_il,comdat
	.globl	_ZN9rocsolver6v33100L21larft_kernel_backwardIfPfEEv15rocblas_storev_iiT0_iilPT_lS6_il ; -- Begin function _ZN9rocsolver6v33100L21larft_kernel_backwardIfPfEEv15rocblas_storev_iiT0_iilPT_lS6_il
	.p2align	8
	.type	_ZN9rocsolver6v33100L21larft_kernel_backwardIfPfEEv15rocblas_storev_iiT0_iilPT_lS6_il,@function
_ZN9rocsolver6v33100L21larft_kernel_backwardIfPfEEv15rocblas_storev_iiT0_iilPT_lS6_il: ; @_ZN9rocsolver6v33100L21larft_kernel_backwardIfPfEEv15rocblas_storev_iiT0_iilPT_lS6_il
; %bb.0:
	s_clause 0x4
	s_load_b64 s[20:21], s[0:1], 0x48
	s_load_b128 s[16:19], s[0:1], 0x0
	s_load_b32 s13, s[0:1], 0x5c
	s_load_b256 s[4:11], s[0:1], 0x20
	s_load_b32 s3, s[0:1], 0x40
	s_ashr_i32 s12, s15, 31
	v_add_nc_u32_e32 v6, 1, v0
	v_lshlrev_b32_e32 v7, 2, v0
	s_waitcnt lgkmcnt(0)
	s_mul_i32 s2, s15, s21
	s_mul_hi_u32 s14, s15, s20
	s_mul_i32 s19, s12, s20
	s_add_i32 s2, s14, s2
	s_mul_i32 s20, s15, s20
	s_add_i32 s21, s2, s19
	v_cmp_gt_i32_e64 s2, s18, v0
	s_lshl_b64 s[20:21], s[20:21], 2
	s_and_b32 s14, s13, 0xffff
	s_add_u32 s19, s10, s20
	s_addc_u32 s24, s11, s21
	s_and_saveexec_b32 s10, s2
	s_cbranch_execz .LBB14_5
; %bb.1:
	s_lshl_b32 s11, s18, 2
	v_add_nc_u32_e32 v3, 1, v0
	v_add3_u32 v4, 0, s11, v7
	v_mov_b32_e32 v5, v0
	s_mov_b32 s13, 0
	s_lshl_b32 s20, s14, 2
	.p2align	6
.LBB14_2:                               ; =>This Loop Header: Depth=1
                                        ;     Child Loop BB14_3 Depth 2
	s_delay_alu instid0(VALU_DEP_1)
	v_dual_mov_b32 v1, v5 :: v_dual_mov_b32 v8, v4
	s_mov_b32 s21, 0
	s_mov_b32 s22, 0
	.p2align	6
.LBB14_3:                               ;   Parent Loop BB14_2 Depth=1
                                        ; =>  This Inner Loop Header: Depth=2
	s_delay_alu instid0(VALU_DEP_1) | instskip(SKIP_1) | instid1(VALU_DEP_1)
	v_ashrrev_i32_e32 v2, 31, v1
	s_add_i32 s22, s22, 1
	v_lshlrev_b64 v[9:10], 2, v[1:2]
	v_add_nc_u32_e32 v1, s3, v1
	s_delay_alu instid0(VALU_DEP_2) | instskip(NEXT) | instid1(VALU_DEP_3)
	v_add_co_u32 v9, vcc_lo, s19, v9
	v_add_co_ci_u32_e32 v10, vcc_lo, s24, v10, vcc_lo
	v_cmp_eq_u32_e32 vcc_lo, s22, v3
	global_load_b32 v2, v[9:10], off
	s_or_b32 s21, vcc_lo, s21
	s_waitcnt vmcnt(0)
	ds_store_b32 v8, v2
	v_add_nc_u32_e32 v8, s11, v8
	s_and_not1_b32 exec_lo, exec_lo, s21
	s_cbranch_execnz .LBB14_3
; %bb.4:                                ;   in Loop: Header=BB14_2 Depth=1
	s_or_b32 exec_lo, exec_lo, s21
	v_add_nc_u32_e32 v5, s14, v5
	v_add_nc_u32_e32 v3, s14, v3
	;; [unrolled: 1-line block ×3, first 2 shown]
	s_delay_alu instid0(VALU_DEP_3) | instskip(SKIP_1) | instid1(SALU_CYCLE_1)
	v_cmp_le_i32_e32 vcc_lo, s18, v5
	s_or_b32 s13, vcc_lo, s13
	s_and_not1_b32 exec_lo, exec_lo, s13
	s_cbranch_execnz .LBB14_2
.LBB14_5:
	s_or_b32 exec_lo, exec_lo, s10
	s_cmp_lt_i32 s18, 2
	s_waitcnt lgkmcnt(0)
	s_barrier
	buffer_gl0_inv
	s_cbranch_scc1 .LBB14_30
; %bb.6:
	s_load_b128 s[20:23], s[0:1], 0x10
	s_mul_i32 s1, s15, s9
	s_mul_hi_u32 s9, s15, s8
	s_mul_i32 s10, s12, s8
	s_add_i32 s1, s9, s1
	s_mul_i32 s0, s15, s8
	s_add_i32 s1, s1, s10
	s_mul_i32 s10, s5, s15
	s_lshl_b64 s[0:1], s[0:1], 2
	s_mul_i32 s8, s4, s12
	s_mul_hi_u32 s9, s4, s15
	s_waitcnt lgkmcnt(0)
	s_ashr_i32 s5, s22, 31
	s_add_u32 s25, s6, s0
	s_addc_u32 s26, s7, s1
	s_lshl_b32 s27, s18, 2
	s_add_i32 s6, s18, -2
	s_sub_i32 s17, s17, s18
	s_add_i32 s28, s27, 0
	s_cmpk_lg_i32 s16, 0xb5
	s_mul_i32 s0, s4, s15
	s_cselect_b32 s15, -1, 0
	s_add_i32 s1, s9, s8
	s_mov_b32 s4, s22
	s_add_i32 s1, s1, s10
	s_lshl_b64 s[4:5], s[4:5], 2
	s_lshl_b64 s[0:1], s[0:1], 2
	s_mov_b32 s7, 0
	s_add_u32 s8, s0, s4
	s_addc_u32 s9, s1, s5
	s_lshl_b64 s[0:1], s[6:7], 2
	s_mov_b32 s4, s23
	s_add_u32 s5, s8, s0
	s_addc_u32 s10, s9, s1
	s_add_u32 s16, s20, s5
	s_addc_u32 s22, s21, s10
	s_ashr_i32 s5, s23, 31
	v_mul_lo_u32 v8, v0, s23
	s_lshl_b64 s[4:5], s[4:5], 2
	s_add_u32 s20, s20, s8
	s_addc_u32 s21, s21, s9
	s_add_u32 s0, s20, s0
	s_addc_u32 s1, s21, s1
	v_add_co_u32 v1, s0, s0, v7
	s_add_i32 s9, s27, 4
	v_add_co_ci_u32_e64 v2, null, s1, 0, s0
	s_mul_i32 s0, s18, s9
	s_delay_alu instid0(VALU_DEP_2) | instskip(SKIP_1) | instid1(VALU_DEP_2)
	v_add_co_u32 v1, vcc_lo, v1, 4
	s_add_i32 s0, s0, 0
	v_add_co_ci_u32_e32 v2, vcc_lo, 0, v2, vcc_lo
	v_add3_u32 v9, s0, v7, -4
	s_add_i32 s8, s18, -1
	s_lshl_b32 s29, s14, 2
	s_mul_i32 s8, s23, s8
	s_mul_i32 s30, s23, s14
	;; [unrolled: 1-line block ×3, first 2 shown]
	s_xor_b32 s31, s27, -4
	s_branch .LBB14_8
.LBB14_7:                               ;   in Loop: Header=BB14_8 Depth=1
	s_or_b32 exec_lo, exec_lo, s0
	v_add_co_u32 v1, vcc_lo, v1, -4
	s_add_i32 s0, s6, -1
	v_add_co_ci_u32_e32 v2, vcc_lo, -1, v2, vcc_lo
	v_add_nc_u32_e32 v9, s31, v9
	s_add_u32 s16, s16, -4
	s_addc_u32 s22, s22, -1
	s_sub_i32 s8, s8, s23
	s_sub_i32 s10, s10, s23
	s_cmp_lt_i32 s6, 1
	s_mov_b32 s6, s0
	s_waitcnt lgkmcnt(0)
	s_barrier
	buffer_gl0_inv
	s_cbranch_scc1 .LBB14_30
.LBB14_8:                               ; =>This Loop Header: Depth=1
                                        ;     Child Loop BB14_12 Depth 2
                                        ;       Child Loop BB14_14 Depth 3
                                        ;     Child Loop BB14_21 Depth 2
                                        ;       Child Loop BB14_23 Depth 3
	;; [unrolled: 2-line block ×3, first 2 shown]
	s_not_b32 s33, s6
	s_lshl_b32 s0, s6, 2
	s_mul_i32 s1, s6, s18
	s_add_i32 s33, s33, s18
	s_add_i32 s34, s28, s0
	s_lshl_b32 s0, s1, 2
	s_add_i32 s35, s6, s17
	s_add_i32 s34, s34, s0
	v_cmp_gt_i32_e64 s0, s33, v0
	s_and_b32 vcc_lo, exec_lo, s15
	s_mov_b32 s1, -1
	s_cbranch_vccz .LBB14_16
; %bb.9:                                ;   in Loop: Header=BB14_8 Depth=1
	s_delay_alu instid0(VALU_DEP_1)
	s_and_saveexec_b32 s9, s0
	s_cbranch_execz .LBB14_15
; %bb.10:                               ;   in Loop: Header=BB14_8 Depth=1
	s_cmp_gt_i32 s35, 0
	v_dual_mov_b32 v4, v2 :: v_dual_mov_b32 v3, v1
	s_cselect_b32 s11, -1, 0
	s_lshl_b64 s[0:1], s[6:7], 2
	v_mov_b32_e32 v5, v0
	s_add_u32 s0, s25, s0
	s_addc_u32 s1, s26, s1
	s_mov_b32 s13, 0
	s_load_b32 s12, s[0:1], 0x0
	s_add_i32 s36, s34, 4
	s_set_inst_prefetch_distance 0x1
	s_branch .LBB14_12
	.p2align	6
.LBB14_11:                              ;   in Loop: Header=BB14_12 Depth=2
	v_lshlrev_b32_e32 v11, 2, v5
	v_add_nc_u32_e32 v5, s14, v5
	v_add_co_u32 v3, s0, v3, s29
	s_delay_alu instid0(VALU_DEP_1) | instskip(NEXT) | instid1(VALU_DEP_4)
	v_add_co_ci_u32_e64 v4, s0, 0, v4, s0
	v_add_nc_u32_e32 v12, s36, v11
	s_delay_alu instid0(VALU_DEP_4)
	v_cmp_le_i32_e32 vcc_lo, s33, v5
	ds_load_b32 v12, v12
	s_or_b32 s13, vcc_lo, s13
	s_waitcnt lgkmcnt(0)
	v_dual_fmac_f32 v12, s12, v10 :: v_dual_add_nc_u32 v11, 0, v11
	ds_store_b32 v11, v12
	s_and_not1_b32 exec_lo, exec_lo, s13
	s_cbranch_execz .LBB14_15
.LBB14_12:                              ;   Parent Loop BB14_8 Depth=1
                                        ; =>  This Loop Header: Depth=2
                                        ;       Child Loop BB14_14 Depth 3
	v_mov_b32_e32 v10, 0
	s_and_not1_b32 vcc_lo, exec_lo, s11
	s_cbranch_vccnz .LBB14_11
; %bb.13:                               ;   in Loop: Header=BB14_12 Depth=2
	s_mov_b32 s37, 0
	s_mov_b64 s[0:1], 0
.LBB14_14:                              ;   Parent Loop BB14_8 Depth=1
                                        ;     Parent Loop BB14_12 Depth=2
                                        ; =>    This Inner Loop Header: Depth=3
	s_delay_alu instid0(SALU_CYCLE_1)
	v_add_co_u32 v11, vcc_lo, v3, s0
	v_add_co_ci_u32_e32 v12, vcc_lo, s1, v4, vcc_lo
	s_add_u32 s38, s16, s0
	s_addc_u32 s39, s22, s1
	s_add_i32 s37, s37, 1
	global_load_b32 v11, v[11:12], off
	s_load_b32 s38, s[38:39], 0x0
	s_add_u32 s0, s0, s4
	s_addc_u32 s1, s1, s5
	s_cmp_ge_i32 s37, s35
	s_waitcnt vmcnt(0) lgkmcnt(0)
	v_fmac_f32_e32 v10, s38, v11
	s_cbranch_scc0 .LBB14_14
	s_branch .LBB14_11
.LBB14_15:                              ;   in Loop: Header=BB14_8 Depth=1
	s_set_inst_prefetch_distance 0x2
	s_or_b32 exec_lo, exec_lo, s9
	s_mov_b32 s1, 0
.LBB14_16:                              ;   in Loop: Header=BB14_8 Depth=1
	s_delay_alu instid0(SALU_CYCLE_1)
	s_and_not1_b32 vcc_lo, exec_lo, s1
	s_cbranch_vccnz .LBB14_25
; %bb.17:                               ;   in Loop: Header=BB14_8 Depth=1
	s_mov_b32 s36, exec_lo
	v_cmpx_gt_i32_e64 s33, v0
	s_cbranch_execz .LBB14_24
; %bb.18:                               ;   in Loop: Header=BB14_8 Depth=1
	s_ashr_i32 s11, s10, 31
	s_ashr_i32 s9, s8, 31
	s_lshl_b64 s[0:1], s[10:11], 2
	s_lshl_b64 s[12:13], s[8:9], 2
	s_add_u32 s0, s20, s0
	s_addc_u32 s1, s21, s1
	s_cmp_gt_i32 s35, 0
	v_mov_b32_e32 v3, v8
	s_cselect_b32 s9, -1, 0
	s_lshl_b64 s[38:39], s[6:7], 2
	v_mov_b32_e32 v10, v0
	s_add_u32 s38, s25, s38
	s_addc_u32 s39, s26, s39
	s_mov_b32 s37, 0
	s_load_b32 s11, s[38:39], 0x0
	s_add_i32 s38, s34, 4
	s_add_u32 s39, s20, s12
	s_addc_u32 s40, s21, s13
	s_set_inst_prefetch_distance 0x1
	s_branch .LBB14_21
	.p2align	6
.LBB14_19:                              ;   in Loop: Header=BB14_21 Depth=2
	v_mov_b32_e32 v11, 0
.LBB14_20:                              ;   in Loop: Header=BB14_21 Depth=2
	v_lshlrev_b32_e32 v4, 2, v10
	v_add_nc_u32_e32 v10, s14, v10
	v_add_nc_u32_e32 v3, s30, v3
	s_delay_alu instid0(VALU_DEP_3) | instskip(NEXT) | instid1(VALU_DEP_3)
	v_add_nc_u32_e32 v5, s38, v4
	v_cmp_le_i32_e32 vcc_lo, s33, v10
	ds_load_b32 v5, v5
	s_or_b32 s37, vcc_lo, s37
	s_waitcnt lgkmcnt(0)
	v_dual_fmac_f32 v5, s11, v11 :: v_dual_add_nc_u32 v4, 0, v4
	ds_store_b32 v4, v5
	s_and_not1_b32 exec_lo, exec_lo, s37
	s_cbranch_execz .LBB14_24
.LBB14_21:                              ;   Parent Loop BB14_8 Depth=1
                                        ; =>  This Loop Header: Depth=2
                                        ;       Child Loop BB14_23 Depth 3
	s_and_not1_b32 vcc_lo, exec_lo, s9
	s_cbranch_vccnz .LBB14_19
; %bb.22:                               ;   in Loop: Header=BB14_21 Depth=2
	v_ashrrev_i32_e32 v4, 31, v3
	v_mov_b32_e32 v11, 0
	s_mov_b32 s41, 0
	s_mov_b64 s[12:13], s[0:1]
	s_delay_alu instid0(VALU_DEP_2) | instskip(NEXT) | instid1(VALU_DEP_1)
	v_lshlrev_b64 v[4:5], 2, v[3:4]
	v_add_co_u32 v4, vcc_lo, s39, v4
	s_delay_alu instid0(VALU_DEP_2)
	v_add_co_ci_u32_e32 v5, vcc_lo, s40, v5, vcc_lo
.LBB14_23:                              ;   Parent Loop BB14_8 Depth=1
                                        ;     Parent Loop BB14_21 Depth=2
                                        ; =>    This Inner Loop Header: Depth=3
	global_load_b32 v12, v[4:5], off
	s_load_b32 s42, s[12:13], 0x0
	v_add_co_u32 v4, vcc_lo, v4, 4
	s_add_i32 s41, s41, 1
	v_add_co_ci_u32_e32 v5, vcc_lo, 0, v5, vcc_lo
	s_add_u32 s12, s12, 4
	s_addc_u32 s13, s13, 0
	s_cmp_ge_i32 s41, s35
	s_waitcnt vmcnt(0) lgkmcnt(0)
	v_fmac_f32_e32 v11, s42, v12
	s_cbranch_scc0 .LBB14_23
	s_branch .LBB14_20
.LBB14_24:                              ;   in Loop: Header=BB14_8 Depth=1
	s_set_inst_prefetch_distance 0x2
	s_or_b32 exec_lo, exec_lo, s36
.LBB14_25:                              ;   in Loop: Header=BB14_8 Depth=1
	s_delay_alu instid0(SALU_CYCLE_1)
	s_mov_b32 s0, exec_lo
	s_waitcnt lgkmcnt(0)
	s_barrier
	buffer_gl0_inv
	v_cmpx_gt_i32_e64 s33, v0
	s_cbranch_execz .LBB14_7
; %bb.26:                               ;   in Loop: Header=BB14_8 Depth=1
	v_dual_mov_b32 v3, v9 :: v_dual_mov_b32 v4, v0
	s_add_i32 s34, s34, 4
	s_mov_b32 s1, 0
	.p2align	6
.LBB14_27:                              ;   Parent Loop BB14_8 Depth=1
                                        ; =>  This Loop Header: Depth=2
                                        ;       Child Loop BB14_28 Depth 3
	s_delay_alu instid0(VALU_DEP_1)
	v_dual_mov_b32 v5, 0 :: v_dual_mov_b32 v10, v3
	s_mov_b32 s11, -1
	s_mov_b32 s9, 0
	s_mov_b32 s12, 0
.LBB14_28:                              ;   Parent Loop BB14_8 Depth=1
                                        ;     Parent Loop BB14_27 Depth=2
                                        ; =>    This Inner Loop Header: Depth=3
	s_delay_alu instid0(SALU_CYCLE_1)
	v_mov_b32_e32 v11, s12
	s_add_i32 s11, s11, 1
	s_add_i32 s12, s12, 4
	v_cmp_eq_u32_e32 vcc_lo, s11, v4
	ds_load_b32 v12, v10
	ds_load_b32 v11, v11
	v_add_nc_u32_e32 v10, s27, v10
	s_or_b32 s9, vcc_lo, s9
	s_waitcnt lgkmcnt(0)
	v_fmac_f32_e32 v5, v12, v11
	s_and_not1_b32 exec_lo, exec_lo, s9
	s_cbranch_execnz .LBB14_28
; %bb.29:                               ;   in Loop: Header=BB14_27 Depth=2
	s_or_b32 exec_lo, exec_lo, s9
	v_lshl_add_u32 v10, v4, 2, s34
	v_add_nc_u32_e32 v4, s14, v4
	v_add_nc_u32_e32 v3, s29, v3
	ds_store_b32 v10, v5
	v_cmp_le_i32_e32 vcc_lo, s33, v4
	s_or_b32 s1, vcc_lo, s1
	s_delay_alu instid0(SALU_CYCLE_1)
	s_and_not1_b32 exec_lo, exec_lo, s1
	s_cbranch_execnz .LBB14_27
	s_branch .LBB14_7
.LBB14_30:
	s_and_saveexec_b32 s0, s2
	s_cbranch_execz .LBB14_35
; %bb.31:
	s_lshl_b32 s1, s18, 2
	s_mov_b32 s2, 0
	v_add3_u32 v3, 0, s1, v7
	s_lshl_b32 s4, s14, 2
	.p2align	6
.LBB14_32:                              ; =>This Loop Header: Depth=1
                                        ;     Child Loop BB14_33 Depth 2
	s_delay_alu instid0(VALU_DEP_1)
	v_dual_mov_b32 v4, v3 :: v_dual_mov_b32 v1, v0
	s_mov_b32 s5, 0
	s_mov_b32 s6, 0
	.p2align	6
.LBB14_33:                              ;   Parent Loop BB14_32 Depth=1
                                        ; =>  This Inner Loop Header: Depth=2
	ds_load_b32 v5, v4
	v_ashrrev_i32_e32 v2, 31, v1
	s_add_i32 s6, s6, 1
	v_add_nc_u32_e32 v4, s1, v4
	v_cmp_eq_u32_e32 vcc_lo, s6, v6
	s_delay_alu instid0(VALU_DEP_3) | instskip(SKIP_2) | instid1(VALU_DEP_2)
	v_lshlrev_b64 v[7:8], 2, v[1:2]
	v_add_nc_u32_e32 v1, s3, v1
	s_or_b32 s5, vcc_lo, s5
	v_add_co_u32 v7, s0, s19, v7
	s_delay_alu instid0(VALU_DEP_1)
	v_add_co_ci_u32_e64 v8, s0, s24, v8, s0
	s_waitcnt lgkmcnt(0)
	global_store_b32 v[7:8], v5, off
	s_and_not1_b32 exec_lo, exec_lo, s5
	s_cbranch_execnz .LBB14_33
; %bb.34:                               ;   in Loop: Header=BB14_32 Depth=1
	s_or_b32 exec_lo, exec_lo, s5
	v_add_nc_u32_e32 v0, s14, v0
	v_add_nc_u32_e32 v6, s14, v6
	;; [unrolled: 1-line block ×3, first 2 shown]
	s_delay_alu instid0(VALU_DEP_3) | instskip(SKIP_1) | instid1(SALU_CYCLE_1)
	v_cmp_le_i32_e32 vcc_lo, s18, v0
	s_or_b32 s2, vcc_lo, s2
	s_and_not1_b32 exec_lo, exec_lo, s2
	s_cbranch_execnz .LBB14_32
.LBB14_35:
	s_nop 0
	s_sendmsg sendmsg(MSG_DEALLOC_VGPRS)
	s_endpgm
	.section	.rodata,"a",@progbits
	.p2align	6, 0x0
	.amdhsa_kernel _ZN9rocsolver6v33100L21larft_kernel_backwardIfPfEEv15rocblas_storev_iiT0_iilPT_lS6_il
		.amdhsa_group_segment_fixed_size 0
		.amdhsa_private_segment_fixed_size 0
		.amdhsa_kernarg_size 336
		.amdhsa_user_sgpr_count 14
		.amdhsa_user_sgpr_dispatch_ptr 0
		.amdhsa_user_sgpr_queue_ptr 0
		.amdhsa_user_sgpr_kernarg_segment_ptr 1
		.amdhsa_user_sgpr_dispatch_id 0
		.amdhsa_user_sgpr_private_segment_size 0
		.amdhsa_wavefront_size32 1
		.amdhsa_uses_dynamic_stack 0
		.amdhsa_enable_private_segment 0
		.amdhsa_system_sgpr_workgroup_id_x 1
		.amdhsa_system_sgpr_workgroup_id_y 1
		.amdhsa_system_sgpr_workgroup_id_z 0
		.amdhsa_system_sgpr_workgroup_info 0
		.amdhsa_system_vgpr_workitem_id 0
		.amdhsa_next_free_vgpr 13
		.amdhsa_next_free_sgpr 43
		.amdhsa_reserve_vcc 1
		.amdhsa_float_round_mode_32 0
		.amdhsa_float_round_mode_16_64 0
		.amdhsa_float_denorm_mode_32 3
		.amdhsa_float_denorm_mode_16_64 3
		.amdhsa_dx10_clamp 1
		.amdhsa_ieee_mode 1
		.amdhsa_fp16_overflow 0
		.amdhsa_workgroup_processor_mode 1
		.amdhsa_memory_ordered 1
		.amdhsa_forward_progress 0
		.amdhsa_shared_vgpr_count 0
		.amdhsa_exception_fp_ieee_invalid_op 0
		.amdhsa_exception_fp_denorm_src 0
		.amdhsa_exception_fp_ieee_div_zero 0
		.amdhsa_exception_fp_ieee_overflow 0
		.amdhsa_exception_fp_ieee_underflow 0
		.amdhsa_exception_fp_ieee_inexact 0
		.amdhsa_exception_int_div_zero 0
	.end_amdhsa_kernel
	.section	.text._ZN9rocsolver6v33100L21larft_kernel_backwardIfPfEEv15rocblas_storev_iiT0_iilPT_lS6_il,"axG",@progbits,_ZN9rocsolver6v33100L21larft_kernel_backwardIfPfEEv15rocblas_storev_iiT0_iilPT_lS6_il,comdat
.Lfunc_end14:
	.size	_ZN9rocsolver6v33100L21larft_kernel_backwardIfPfEEv15rocblas_storev_iiT0_iilPT_lS6_il, .Lfunc_end14-_ZN9rocsolver6v33100L21larft_kernel_backwardIfPfEEv15rocblas_storev_iiT0_iilPT_lS6_il
                                        ; -- End function
	.section	.AMDGPU.csdata,"",@progbits
; Kernel info:
; codeLenInByte = 1612
; NumSgprs: 45
; NumVgprs: 13
; ScratchSize: 0
; MemoryBound: 0
; FloatMode: 240
; IeeeMode: 1
; LDSByteSize: 0 bytes/workgroup (compile time only)
; SGPRBlocks: 5
; VGPRBlocks: 1
; NumSGPRsForWavesPerEU: 45
; NumVGPRsForWavesPerEU: 13
; Occupancy: 16
; WaveLimiterHint : 0
; COMPUTE_PGM_RSRC2:SCRATCH_EN: 0
; COMPUTE_PGM_RSRC2:USER_SGPR: 14
; COMPUTE_PGM_RSRC2:TRAP_HANDLER: 0
; COMPUTE_PGM_RSRC2:TGID_X_EN: 1
; COMPUTE_PGM_RSRC2:TGID_Y_EN: 1
; COMPUTE_PGM_RSRC2:TGID_Z_EN: 0
; COMPUTE_PGM_RSRC2:TIDIG_COMP_CNT: 0
	.section	.text._ZN9rocsolver6v33100L9copymatA1IfPfEEviiT0_iilPT_,"axG",@progbits,_ZN9rocsolver6v33100L9copymatA1IfPfEEviiT0_iilPT_,comdat
	.globl	_ZN9rocsolver6v33100L9copymatA1IfPfEEviiT0_iilPT_ ; -- Begin function _ZN9rocsolver6v33100L9copymatA1IfPfEEviiT0_iilPT_
	.p2align	8
	.type	_ZN9rocsolver6v33100L9copymatA1IfPfEEviiT0_iilPT_,@function
_ZN9rocsolver6v33100L9copymatA1IfPfEEviiT0_iilPT_: ; @_ZN9rocsolver6v33100L9copymatA1IfPfEEviiT0_iilPT_
; %bb.0:
	s_clause 0x1
	s_load_b32 s2, s[0:1], 0x34
	s_load_b64 s[8:9], s[0:1], 0x0
	v_bfe_u32 v2, v0, 10, 10
	v_and_b32_e32 v3, 0x3ff, v0
	s_waitcnt lgkmcnt(0)
	s_lshr_b32 s3, s2, 16
	s_and_b32 s2, s2, 0xffff
	s_delay_alu instid0(VALU_DEP_1) | instskip(SKIP_1) | instid1(VALU_DEP_2)
	v_mad_u64_u32 v[0:1], null, s14, s3, v[2:3]
	v_mad_u64_u32 v[1:2], null, s13, s2, v[3:4]
	v_cmp_gt_u32_e32 vcc_lo, s8, v0
	s_delay_alu instid0(VALU_DEP_2) | instskip(NEXT) | instid1(VALU_DEP_1)
	v_cmp_gt_u32_e64 s2, s9, v1
	s_and_b32 s2, s2, vcc_lo
	s_delay_alu instid0(SALU_CYCLE_1)
	s_and_saveexec_b32 s3, s2
	s_cbranch_execz .LBB15_2
; %bb.1:
	s_load_b256 s[0:7], s[0:1], 0x8
	s_ashr_i32 s10, s8, 31
	s_ashr_i32 s11, s9, 31
	s_mul_hi_u32 s12, s8, s15
	s_mul_i32 s13, s8, s15
	s_mul_i32 s10, s10, s15
	;; [unrolled: 1-line block ×3, first 2 shown]
	s_mul_hi_u32 s14, s13, s9
	s_add_i32 s10, s12, s10
	s_add_i32 s11, s14, s11
	s_mul_i32 s12, s10, s9
	s_mul_i32 s10, s13, s9
	s_add_i32 s11, s11, s12
	s_delay_alu instid0(SALU_CYCLE_1)
	s_lshl_b64 s[10:11], s[10:11], 2
	s_waitcnt lgkmcnt(0)
	v_mad_u64_u32 v[2:3], null, v1, s3, v[0:1]
	s_add_u32 s9, s6, s10
	s_mul_i32 s5, s15, s5
	s_mul_hi_u32 s10, s15, s4
	v_mov_b32_e32 v3, 0
	s_mul_i32 s4, s15, s4
	s_addc_u32 s3, s7, s11
	s_add_i32 s5, s10, s5
	s_mov_b32 s6, s2
	s_lshl_b64 s[4:5], s[4:5], 2
	s_ashr_i32 s7, s2, 31
	v_lshlrev_b64 v[4:5], 2, v[2:3]
	s_add_u32 s2, s0, s4
	s_addc_u32 s4, s1, s5
	s_lshl_b64 s[0:1], s[6:7], 2
	s_delay_alu instid0(SALU_CYCLE_1)
	s_add_u32 s0, s2, s0
	s_addc_u32 s1, s4, s1
	v_add_co_u32 v4, vcc_lo, s0, v4
	v_add_co_ci_u32_e32 v5, vcc_lo, s1, v5, vcc_lo
	global_load_b32 v2, v[4:5], off
	v_mad_u64_u32 v[4:5], null, v1, s8, v[0:1]
	v_mov_b32_e32 v5, v3
	s_delay_alu instid0(VALU_DEP_1) | instskip(NEXT) | instid1(VALU_DEP_1)
	v_lshlrev_b64 v[0:1], 2, v[4:5]
	v_add_co_u32 v0, vcc_lo, s9, v0
	s_delay_alu instid0(VALU_DEP_2)
	v_add_co_ci_u32_e32 v1, vcc_lo, s3, v1, vcc_lo
	s_waitcnt vmcnt(0)
	global_store_b32 v[0:1], v2, off
.LBB15_2:
	s_nop 0
	s_sendmsg sendmsg(MSG_DEALLOC_VGPRS)
	s_endpgm
	.section	.rodata,"a",@progbits
	.p2align	6, 0x0
	.amdhsa_kernel _ZN9rocsolver6v33100L9copymatA1IfPfEEviiT0_iilPT_
		.amdhsa_group_segment_fixed_size 0
		.amdhsa_private_segment_fixed_size 0
		.amdhsa_kernarg_size 296
		.amdhsa_user_sgpr_count 13
		.amdhsa_user_sgpr_dispatch_ptr 0
		.amdhsa_user_sgpr_queue_ptr 0
		.amdhsa_user_sgpr_kernarg_segment_ptr 1
		.amdhsa_user_sgpr_dispatch_id 0
		.amdhsa_user_sgpr_private_segment_size 0
		.amdhsa_wavefront_size32 1
		.amdhsa_uses_dynamic_stack 0
		.amdhsa_enable_private_segment 0
		.amdhsa_system_sgpr_workgroup_id_x 1
		.amdhsa_system_sgpr_workgroup_id_y 1
		.amdhsa_system_sgpr_workgroup_id_z 1
		.amdhsa_system_sgpr_workgroup_info 0
		.amdhsa_system_vgpr_workitem_id 1
		.amdhsa_next_free_vgpr 6
		.amdhsa_next_free_sgpr 16
		.amdhsa_reserve_vcc 1
		.amdhsa_float_round_mode_32 0
		.amdhsa_float_round_mode_16_64 0
		.amdhsa_float_denorm_mode_32 3
		.amdhsa_float_denorm_mode_16_64 3
		.amdhsa_dx10_clamp 1
		.amdhsa_ieee_mode 1
		.amdhsa_fp16_overflow 0
		.amdhsa_workgroup_processor_mode 1
		.amdhsa_memory_ordered 1
		.amdhsa_forward_progress 0
		.amdhsa_shared_vgpr_count 0
		.amdhsa_exception_fp_ieee_invalid_op 0
		.amdhsa_exception_fp_denorm_src 0
		.amdhsa_exception_fp_ieee_div_zero 0
		.amdhsa_exception_fp_ieee_overflow 0
		.amdhsa_exception_fp_ieee_underflow 0
		.amdhsa_exception_fp_ieee_inexact 0
		.amdhsa_exception_int_div_zero 0
	.end_amdhsa_kernel
	.section	.text._ZN9rocsolver6v33100L9copymatA1IfPfEEviiT0_iilPT_,"axG",@progbits,_ZN9rocsolver6v33100L9copymatA1IfPfEEviiT0_iilPT_,comdat
.Lfunc_end15:
	.size	_ZN9rocsolver6v33100L9copymatA1IfPfEEviiT0_iilPT_, .Lfunc_end15-_ZN9rocsolver6v33100L9copymatA1IfPfEEviiT0_iilPT_
                                        ; -- End function
	.section	.AMDGPU.csdata,"",@progbits
; Kernel info:
; codeLenInByte = 336
; NumSgprs: 18
; NumVgprs: 6
; ScratchSize: 0
; MemoryBound: 0
; FloatMode: 240
; IeeeMode: 1
; LDSByteSize: 0 bytes/workgroup (compile time only)
; SGPRBlocks: 2
; VGPRBlocks: 0
; NumSGPRsForWavesPerEU: 18
; NumVGPRsForWavesPerEU: 6
; Occupancy: 16
; WaveLimiterHint : 0
; COMPUTE_PGM_RSRC2:SCRATCH_EN: 0
; COMPUTE_PGM_RSRC2:USER_SGPR: 13
; COMPUTE_PGM_RSRC2:TRAP_HANDLER: 0
; COMPUTE_PGM_RSRC2:TGID_X_EN: 1
; COMPUTE_PGM_RSRC2:TGID_Y_EN: 1
; COMPUTE_PGM_RSRC2:TGID_Z_EN: 1
; COMPUTE_PGM_RSRC2:TIDIG_COMP_CNT: 1
	.section	.text._ZN9rocsolver6v33100L8addmatA1IfPfEEviiT0_iilPT_,"axG",@progbits,_ZN9rocsolver6v33100L8addmatA1IfPfEEviiT0_iilPT_,comdat
	.globl	_ZN9rocsolver6v33100L8addmatA1IfPfEEviiT0_iilPT_ ; -- Begin function _ZN9rocsolver6v33100L8addmatA1IfPfEEviiT0_iilPT_
	.p2align	8
	.type	_ZN9rocsolver6v33100L8addmatA1IfPfEEviiT0_iilPT_,@function
_ZN9rocsolver6v33100L8addmatA1IfPfEEviiT0_iilPT_: ; @_ZN9rocsolver6v33100L8addmatA1IfPfEEviiT0_iilPT_
; %bb.0:
	s_clause 0x1
	s_load_b32 s2, s[0:1], 0x34
	s_load_b64 s[8:9], s[0:1], 0x0
	v_bfe_u32 v2, v0, 10, 10
	v_and_b32_e32 v3, 0x3ff, v0
	s_waitcnt lgkmcnt(0)
	s_lshr_b32 s3, s2, 16
	s_and_b32 s2, s2, 0xffff
	s_delay_alu instid0(VALU_DEP_1) | instskip(SKIP_1) | instid1(VALU_DEP_2)
	v_mad_u64_u32 v[0:1], null, s14, s3, v[2:3]
	v_mad_u64_u32 v[1:2], null, s13, s2, v[3:4]
	v_cmp_gt_u32_e32 vcc_lo, s8, v0
	s_delay_alu instid0(VALU_DEP_2) | instskip(NEXT) | instid1(VALU_DEP_1)
	v_cmp_gt_u32_e64 s2, s9, v1
	s_and_b32 s2, s2, vcc_lo
	s_delay_alu instid0(SALU_CYCLE_1)
	s_and_saveexec_b32 s3, s2
	s_cbranch_execz .LBB16_2
; %bb.1:
	s_load_b256 s[0:7], s[0:1], 0x8
	s_ashr_i32 s10, s8, 31
	s_ashr_i32 s11, s9, 31
	s_mul_hi_u32 s12, s8, s15
	s_mul_i32 s13, s8, s15
	s_mul_i32 s10, s10, s15
	;; [unrolled: 1-line block ×3, first 2 shown]
	s_mul_hi_u32 s14, s13, s9
	s_add_i32 s10, s12, s10
	s_add_i32 s11, s14, s11
	s_mul_i32 s12, s10, s9
	v_mad_u64_u32 v[2:3], null, v1, s8, v[0:1]
	v_mov_b32_e32 v3, 0
	s_mul_i32 s10, s13, s9
	s_add_i32 s11, s11, s12
	s_delay_alu instid0(SALU_CYCLE_1)
	s_lshl_b64 s[8:9], s[10:11], 2
	s_waitcnt lgkmcnt(0)
	v_mad_u64_u32 v[4:5], null, v1, s3, v[0:1]
	s_add_u32 s8, s6, s8
	s_mul_i32 s5, s15, s5
	s_mul_hi_u32 s6, s15, s4
	v_mov_b32_e32 v5, v3
	s_mul_i32 s4, s15, s4
	s_addc_u32 s9, s7, s9
	s_add_i32 s5, s6, s5
	v_lshlrev_b64 v[0:1], 2, v[2:3]
	s_lshl_b64 s[4:5], s[4:5], 2
	s_mov_b32 s6, s2
	s_ashr_i32 s7, s2, 31
	v_lshlrev_b64 v[2:3], 2, v[4:5]
	s_add_u32 s2, s0, s4
	s_addc_u32 s3, s1, s5
	s_lshl_b64 s[0:1], s[6:7], 2
	v_add_co_u32 v0, vcc_lo, s8, v0
	s_add_u32 s0, s2, s0
	v_add_co_ci_u32_e32 v1, vcc_lo, s9, v1, vcc_lo
	s_addc_u32 s1, s3, s1
	v_add_co_u32 v2, vcc_lo, s0, v2
	v_add_co_ci_u32_e32 v3, vcc_lo, s1, v3, vcc_lo
	global_load_b32 v0, v[0:1], off
	global_load_b32 v1, v[2:3], off
	s_waitcnt vmcnt(0)
	v_sub_f32_e32 v0, v1, v0
	global_store_b32 v[2:3], v0, off
.LBB16_2:
	s_nop 0
	s_sendmsg sendmsg(MSG_DEALLOC_VGPRS)
	s_endpgm
	.section	.rodata,"a",@progbits
	.p2align	6, 0x0
	.amdhsa_kernel _ZN9rocsolver6v33100L8addmatA1IfPfEEviiT0_iilPT_
		.amdhsa_group_segment_fixed_size 0
		.amdhsa_private_segment_fixed_size 0
		.amdhsa_kernarg_size 296
		.amdhsa_user_sgpr_count 13
		.amdhsa_user_sgpr_dispatch_ptr 0
		.amdhsa_user_sgpr_queue_ptr 0
		.amdhsa_user_sgpr_kernarg_segment_ptr 1
		.amdhsa_user_sgpr_dispatch_id 0
		.amdhsa_user_sgpr_private_segment_size 0
		.amdhsa_wavefront_size32 1
		.amdhsa_uses_dynamic_stack 0
		.amdhsa_enable_private_segment 0
		.amdhsa_system_sgpr_workgroup_id_x 1
		.amdhsa_system_sgpr_workgroup_id_y 1
		.amdhsa_system_sgpr_workgroup_id_z 1
		.amdhsa_system_sgpr_workgroup_info 0
		.amdhsa_system_vgpr_workitem_id 1
		.amdhsa_next_free_vgpr 6
		.amdhsa_next_free_sgpr 16
		.amdhsa_reserve_vcc 1
		.amdhsa_float_round_mode_32 0
		.amdhsa_float_round_mode_16_64 0
		.amdhsa_float_denorm_mode_32 3
		.amdhsa_float_denorm_mode_16_64 3
		.amdhsa_dx10_clamp 1
		.amdhsa_ieee_mode 1
		.amdhsa_fp16_overflow 0
		.amdhsa_workgroup_processor_mode 1
		.amdhsa_memory_ordered 1
		.amdhsa_forward_progress 0
		.amdhsa_shared_vgpr_count 0
		.amdhsa_exception_fp_ieee_invalid_op 0
		.amdhsa_exception_fp_denorm_src 0
		.amdhsa_exception_fp_ieee_div_zero 0
		.amdhsa_exception_fp_ieee_overflow 0
		.amdhsa_exception_fp_ieee_underflow 0
		.amdhsa_exception_fp_ieee_inexact 0
		.amdhsa_exception_int_div_zero 0
	.end_amdhsa_kernel
	.section	.text._ZN9rocsolver6v33100L8addmatA1IfPfEEviiT0_iilPT_,"axG",@progbits,_ZN9rocsolver6v33100L8addmatA1IfPfEEviiT0_iilPT_,comdat
.Lfunc_end16:
	.size	_ZN9rocsolver6v33100L8addmatA1IfPfEEviiT0_iilPT_, .Lfunc_end16-_ZN9rocsolver6v33100L8addmatA1IfPfEEviiT0_iilPT_
                                        ; -- End function
	.section	.AMDGPU.csdata,"",@progbits
; Kernel info:
; codeLenInByte = 336
; NumSgprs: 18
; NumVgprs: 6
; ScratchSize: 0
; MemoryBound: 0
; FloatMode: 240
; IeeeMode: 1
; LDSByteSize: 0 bytes/workgroup (compile time only)
; SGPRBlocks: 2
; VGPRBlocks: 0
; NumSGPRsForWavesPerEU: 18
; NumVGPRsForWavesPerEU: 6
; Occupancy: 16
; WaveLimiterHint : 0
; COMPUTE_PGM_RSRC2:SCRATCH_EN: 0
; COMPUTE_PGM_RSRC2:USER_SGPR: 13
; COMPUTE_PGM_RSRC2:TRAP_HANDLER: 0
; COMPUTE_PGM_RSRC2:TGID_X_EN: 1
; COMPUTE_PGM_RSRC2:TGID_Y_EN: 1
; COMPUTE_PGM_RSRC2:TGID_Z_EN: 1
; COMPUTE_PGM_RSRC2:TIDIG_COMP_CNT: 1
	.section	.text._ZN9rocsolver6v33100L17check_singularityIfPfEEviT0_iilPi,"axG",@progbits,_ZN9rocsolver6v33100L17check_singularityIfPfEEviT0_iilPi,comdat
	.globl	_ZN9rocsolver6v33100L17check_singularityIfPfEEviT0_iilPi ; -- Begin function _ZN9rocsolver6v33100L17check_singularityIfPfEEviT0_iilPi
	.p2align	8
	.type	_ZN9rocsolver6v33100L17check_singularityIfPfEEviT0_iilPi,@function
_ZN9rocsolver6v33100L17check_singularityIfPfEEviT0_iilPi: ; @_ZN9rocsolver6v33100L17check_singularityIfPfEEviT0_iilPi
; %bb.0:
	v_bfe_u32 v0, v0, 10, 10
	s_mov_b32 s8, s15
	s_delay_alu instid0(VALU_DEP_1)
	v_cmp_eq_u32_e32 vcc_lo, 0, v0
	s_and_saveexec_b32 s2, vcc_lo
	s_cbranch_execz .LBB17_2
; %bb.1:
	v_mov_b32_e32 v1, 0
	ds_store_b32 v1, v1
.LBB17_2:
	s_or_b32 exec_lo, exec_lo, s2
	s_clause 0x1
	s_load_b32 s3, s[0:1], 0x0
	s_load_b128 s[4:7], s[0:1], 0x18
	s_ashr_i32 s9, s8, 31
	s_mov_b32 s10, exec_lo
	s_waitcnt lgkmcnt(0)
	s_barrier
	buffer_gl0_inv
	v_cmpx_gt_i32_e64 s3, v0
	s_cbranch_execz .LBB17_9
; %bb.3:
	s_clause 0x1
	s_load_b128 s[12:15], s[0:1], 0x8
	s_load_b32 s11, s[0:1], 0x34
	s_mul_i32 s0, s8, s5
	s_mul_hi_u32 s1, s8, s4
	s_mul_i32 s2, s9, s4
	s_add_i32 s1, s1, s0
	s_mul_i32 s0, s8, s4
	s_add_i32 s1, s1, s2
	v_mov_b32_e32 v1, 0
	s_lshl_b64 s[0:1], s[0:1], 2
	s_waitcnt lgkmcnt(0)
	s_ashr_i32 s5, s14, 31
	s_mov_b32 s4, s14
	s_add_u32 s2, s12, s0
	s_addc_u32 s12, s13, s1
	s_lshl_b64 s[0:1], s[4:5], 2
	s_delay_alu instid0(SALU_CYCLE_1)
	s_add_u32 s2, s2, s0
	s_addc_u32 s4, s12, s1
	s_add_i32 s5, s15, 1
	s_lshr_b32 s11, s11, 16
	s_mov_b32 s12, 0
	s_set_inst_prefetch_distance 0x1
	s_branch .LBB17_5
	.p2align	6
.LBB17_4:                               ;   in Loop: Header=BB17_5 Depth=1
	s_or_b32 exec_lo, exec_lo, s13
	v_add_nc_u32_e32 v0, s11, v0
	s_delay_alu instid0(VALU_DEP_1) | instskip(NEXT) | instid1(VALU_DEP_1)
	v_cmp_le_i32_e64 s0, s3, v0
	s_or_b32 s12, s0, s12
	s_delay_alu instid0(SALU_CYCLE_1)
	s_and_not1_b32 exec_lo, exec_lo, s12
	s_cbranch_execz .LBB17_9
.LBB17_5:                               ; =>This Loop Header: Depth=1
                                        ;     Child Loop BB17_8 Depth 2
	v_mul_lo_u32 v2, v0, s5
	s_mov_b32 s13, exec_lo
	s_delay_alu instid0(VALU_DEP_1) | instskip(NEXT) | instid1(VALU_DEP_1)
	v_ashrrev_i32_e32 v3, 31, v2
	v_lshlrev_b64 v[2:3], 2, v[2:3]
	s_delay_alu instid0(VALU_DEP_1) | instskip(NEXT) | instid1(VALU_DEP_1)
	v_add_co_u32 v2, s0, s2, v2
	v_add_co_ci_u32_e64 v3, s0, s4, v3, s0
	global_load_b32 v2, v[2:3], off
	s_waitcnt vmcnt(0)
	v_cmpx_eq_f32_e32 0, v2
	s_cbranch_execz .LBB17_4
; %bb.6:                                ;   in Loop: Header=BB17_5 Depth=1
	ds_load_b32 v2, v1
	s_waitcnt lgkmcnt(0)
	v_readfirstlane_b32 s1, v2
	v_add_nc_u32_e32 v2, 1, v0
	s_delay_alu instid0(VALU_DEP_2) | instskip(NEXT) | instid1(VALU_DEP_1)
	s_cmp_eq_u32 s1, 0
	v_cmp_gt_i32_e64 s0, s1, v2
	s_cselect_b32 s14, -1, 0
	s_delay_alu instid0(VALU_DEP_1) | instid1(SALU_CYCLE_1)
	s_or_b32 s0, s14, s0
	s_delay_alu instid0(SALU_CYCLE_1)
	s_and_b32 exec_lo, exec_lo, s0
	s_cbranch_execz .LBB17_4
; %bb.7:                                ;   in Loop: Header=BB17_5 Depth=1
	v_mov_b32_e32 v3, s1
	s_mov_b32 s14, 0
.LBB17_8:                               ;   Parent Loop BB17_5 Depth=1
                                        ; =>  This Inner Loop Header: Depth=2
	ds_cmpstore_rtn_b32 v3, v1, v2, v3
	s_waitcnt lgkmcnt(0)
	v_cmp_ne_u32_e64 s0, 0, v3
	v_cmp_le_i32_e64 s1, v3, v2
	s_delay_alu instid0(VALU_DEP_1) | instskip(NEXT) | instid1(SALU_CYCLE_1)
	s_and_b32 s0, s0, s1
	s_and_b32 s0, exec_lo, s0
	s_delay_alu instid0(SALU_CYCLE_1) | instskip(NEXT) | instid1(SALU_CYCLE_1)
	s_or_b32 s14, s0, s14
	s_and_not1_b32 exec_lo, exec_lo, s14
	s_cbranch_execnz .LBB17_8
	s_branch .LBB17_4
.LBB17_9:
	s_set_inst_prefetch_distance 0x2
	s_or_b32 exec_lo, exec_lo, s10
	s_barrier
	buffer_gl0_inv
	s_and_saveexec_b32 s0, vcc_lo
	s_cbranch_execz .LBB17_11
; %bb.10:
	v_mov_b32_e32 v0, 0
	s_lshl_b64 s[0:1], s[8:9], 2
	s_delay_alu instid0(SALU_CYCLE_1)
	s_add_u32 s0, s6, s0
	s_addc_u32 s1, s7, s1
	ds_load_b32 v1, v0
	s_waitcnt lgkmcnt(0)
	global_store_b32 v0, v1, s[0:1]
.LBB17_11:
	s_nop 0
	s_sendmsg sendmsg(MSG_DEALLOC_VGPRS)
	s_endpgm
	.section	.rodata,"a",@progbits
	.p2align	6, 0x0
	.amdhsa_kernel _ZN9rocsolver6v33100L17check_singularityIfPfEEviT0_iilPi
		.amdhsa_group_segment_fixed_size 4
		.amdhsa_private_segment_fixed_size 0
		.amdhsa_kernarg_size 296
		.amdhsa_user_sgpr_count 15
		.amdhsa_user_sgpr_dispatch_ptr 0
		.amdhsa_user_sgpr_queue_ptr 0
		.amdhsa_user_sgpr_kernarg_segment_ptr 1
		.amdhsa_user_sgpr_dispatch_id 0
		.amdhsa_user_sgpr_private_segment_size 0
		.amdhsa_wavefront_size32 1
		.amdhsa_uses_dynamic_stack 0
		.amdhsa_enable_private_segment 0
		.amdhsa_system_sgpr_workgroup_id_x 1
		.amdhsa_system_sgpr_workgroup_id_y 0
		.amdhsa_system_sgpr_workgroup_id_z 0
		.amdhsa_system_sgpr_workgroup_info 0
		.amdhsa_system_vgpr_workitem_id 1
		.amdhsa_next_free_vgpr 4
		.amdhsa_next_free_sgpr 16
		.amdhsa_reserve_vcc 1
		.amdhsa_float_round_mode_32 0
		.amdhsa_float_round_mode_16_64 0
		.amdhsa_float_denorm_mode_32 3
		.amdhsa_float_denorm_mode_16_64 3
		.amdhsa_dx10_clamp 1
		.amdhsa_ieee_mode 1
		.amdhsa_fp16_overflow 0
		.amdhsa_workgroup_processor_mode 1
		.amdhsa_memory_ordered 1
		.amdhsa_forward_progress 0
		.amdhsa_shared_vgpr_count 0
		.amdhsa_exception_fp_ieee_invalid_op 0
		.amdhsa_exception_fp_denorm_src 0
		.amdhsa_exception_fp_ieee_div_zero 0
		.amdhsa_exception_fp_ieee_overflow 0
		.amdhsa_exception_fp_ieee_underflow 0
		.amdhsa_exception_fp_ieee_inexact 0
		.amdhsa_exception_int_div_zero 0
	.end_amdhsa_kernel
	.section	.text._ZN9rocsolver6v33100L17check_singularityIfPfEEviT0_iilPi,"axG",@progbits,_ZN9rocsolver6v33100L17check_singularityIfPfEEviT0_iilPi,comdat
.Lfunc_end17:
	.size	_ZN9rocsolver6v33100L17check_singularityIfPfEEviT0_iilPi, .Lfunc_end17-_ZN9rocsolver6v33100L17check_singularityIfPfEEviT0_iilPi
                                        ; -- End function
	.section	.AMDGPU.csdata,"",@progbits
; Kernel info:
; codeLenInByte = 520
; NumSgprs: 18
; NumVgprs: 4
; ScratchSize: 0
; MemoryBound: 0
; FloatMode: 240
; IeeeMode: 1
; LDSByteSize: 4 bytes/workgroup (compile time only)
; SGPRBlocks: 2
; VGPRBlocks: 0
; NumSGPRsForWavesPerEU: 18
; NumVGPRsForWavesPerEU: 4
; Occupancy: 16
; WaveLimiterHint : 0
; COMPUTE_PGM_RSRC2:SCRATCH_EN: 0
; COMPUTE_PGM_RSRC2:USER_SGPR: 15
; COMPUTE_PGM_RSRC2:TRAP_HANDLER: 0
; COMPUTE_PGM_RSRC2:TGID_X_EN: 1
; COMPUTE_PGM_RSRC2:TGID_Y_EN: 0
; COMPUTE_PGM_RSRC2:TGID_Z_EN: 0
; COMPUTE_PGM_RSRC2:TIDIG_COMP_CNT: 1
	.section	.text._ZN9rocsolver6v33100L8copy_matIfPfNS0_9info_maskEEEvNS0_17copymat_directionEiiT0_iilPT_T1_13rocblas_fill_17rocblas_diagonal_,"axG",@progbits,_ZN9rocsolver6v33100L8copy_matIfPfNS0_9info_maskEEEvNS0_17copymat_directionEiiT0_iilPT_T1_13rocblas_fill_17rocblas_diagonal_,comdat
	.globl	_ZN9rocsolver6v33100L8copy_matIfPfNS0_9info_maskEEEvNS0_17copymat_directionEiiT0_iilPT_T1_13rocblas_fill_17rocblas_diagonal_ ; -- Begin function _ZN9rocsolver6v33100L8copy_matIfPfNS0_9info_maskEEEvNS0_17copymat_directionEiiT0_iilPT_T1_13rocblas_fill_17rocblas_diagonal_
	.p2align	8
	.type	_ZN9rocsolver6v33100L8copy_matIfPfNS0_9info_maskEEEvNS0_17copymat_directionEiiT0_iilPT_T1_13rocblas_fill_17rocblas_diagonal_,@function
_ZN9rocsolver6v33100L8copy_matIfPfNS0_9info_maskEEEvNS0_17copymat_directionEiiT0_iilPT_T1_13rocblas_fill_17rocblas_diagonal_: ; @_ZN9rocsolver6v33100L8copy_matIfPfNS0_9info_maskEEEvNS0_17copymat_directionEiiT0_iilPT_T1_13rocblas_fill_17rocblas_diagonal_
; %bb.0:
	s_clause 0x2
	s_load_b32 s6, s[0:1], 0x38
	s_load_b32 s7, s[0:1], 0x54
	s_load_b64 s[2:3], s[0:1], 0x30
	s_mov_b32 s16, s15
	s_ashr_i32 s17, s15, 31
	v_bfe_u32 v2, v0, 10, 10
	s_lshl_b64 s[4:5], s[16:17], 2
	v_and_b32_e32 v3, 0x3ff, v0
	s_waitcnt lgkmcnt(0)
	s_and_b32 s8, s6, 0xff
	s_lshr_b32 s9, s7, 16
	s_and_b32 s10, s7, 0xffff
	s_add_u32 s2, s2, s4
	s_addc_u32 s3, s3, s5
	s_load_b32 s2, s[2:3], 0x0
	s_load_b128 s[4:7], s[0:1], 0x0
	v_mad_u64_u32 v[0:1], null, s14, s9, v[2:3]
	v_mad_u64_u32 v[1:2], null, s13, s10, v[3:4]
	s_waitcnt lgkmcnt(0)
	s_cmp_lg_u32 s2, 0
	s_delay_alu instid0(VALU_DEP_1) | instskip(SKIP_1) | instid1(SALU_CYCLE_1)
	v_cmp_gt_u32_e32 vcc_lo, s5, v1
	s_cselect_b32 s2, -1, 0
	v_cndmask_b32_e64 v2, 0, 1, s2
	s_delay_alu instid0(VALU_DEP_4) | instskip(NEXT) | instid1(VALU_DEP_2)
	v_cmp_gt_u32_e64 s2, s6, v0
	v_readfirstlane_b32 s3, v2
	s_delay_alu instid0(VALU_DEP_1) | instskip(SKIP_1) | instid1(VALU_DEP_2)
	s_cmp_lg_u32 s8, s3
	s_cselect_b32 s3, -1, 0
	s_and_b32 s2, s2, vcc_lo
	s_delay_alu instid0(SALU_CYCLE_1) | instskip(NEXT) | instid1(SALU_CYCLE_1)
	s_and_b32 s2, s3, s2
	s_and_saveexec_b32 s3, s2
	s_cbranch_execz .LBB18_14
; %bb.1:
	s_clause 0x1
	s_load_b128 s[8:11], s[0:1], 0x20
	s_load_b64 s[12:13], s[0:1], 0x40
	s_waitcnt lgkmcnt(0)
	s_cmpk_lt_i32 s12, 0x7a
	s_cbranch_scc1 .LBB18_4
; %bb.2:
	s_cmpk_gt_i32 s12, 0x7a
	s_cbranch_scc0 .LBB18_5
; %bb.3:
	s_cmpk_lg_i32 s12, 0x7b
	s_mov_b32 s3, -1
	s_cselect_b32 s7, -1, 0
	s_cbranch_execz .LBB18_6
	s_branch .LBB18_7
.LBB18_4:
	s_mov_b32 s7, 0
	s_mov_b32 s3, 0
	s_cbranch_execnz .LBB18_8
	s_branch .LBB18_10
.LBB18_5:
	s_mov_b32 s3, 0
	s_mov_b32 s7, 0
.LBB18_6:
	v_cmp_gt_u32_e32 vcc_lo, v1, v0
	v_cmp_le_u32_e64 s2, v1, v0
	s_and_not1_b32 s3, s3, exec_lo
	s_and_not1_b32 s7, s7, exec_lo
	s_and_b32 s14, vcc_lo, exec_lo
	s_delay_alu instid0(VALU_DEP_1)
	s_and_b32 s2, s2, exec_lo
	s_or_b32 s3, s3, s14
	s_or_b32 s7, s7, s2
.LBB18_7:
	s_branch .LBB18_10
.LBB18_8:
	s_cmpk_eq_i32 s12, 0x79
	s_mov_b32 s7, -1
	s_cbranch_scc0 .LBB18_10
; %bb.9:
	v_cmp_gt_u32_e32 vcc_lo, v0, v1
	v_cmp_le_u32_e64 s2, v0, v1
	s_and_not1_b32 s3, s3, exec_lo
	s_and_b32 s7, vcc_lo, exec_lo
	s_delay_alu instid0(SALU_CYCLE_1) | instskip(NEXT) | instid1(VALU_DEP_1)
	s_or_b32 s3, s3, s7
	s_or_not1_b32 s7, s2, exec_lo
.LBB18_10:
	s_delay_alu instid0(SALU_CYCLE_1)
	s_and_saveexec_b32 s2, s7
; %bb.11:
	v_cmp_eq_u32_e32 vcc_lo, v1, v0
	s_cmpk_eq_i32 s13, 0x83
	s_cselect_b32 s7, -1, 0
	s_and_not1_b32 s3, s3, exec_lo
	s_and_b32 s7, s7, vcc_lo
	s_delay_alu instid0(SALU_CYCLE_1) | instskip(NEXT) | instid1(SALU_CYCLE_1)
	s_and_b32 s7, s7, exec_lo
	s_or_b32 s3, s3, s7
; %bb.12:
	s_or_b32 exec_lo, exec_lo, s2
	s_delay_alu instid0(SALU_CYCLE_1)
	s_and_b32 exec_lo, exec_lo, s3
	s_cbranch_execz .LBB18_14
; %bb.13:
	s_load_b128 s[0:3], s[0:1], 0x10
	s_mul_i32 s9, s16, s9
	s_mul_hi_u32 s13, s16, s8
	s_mul_i32 s8, s16, s8
	s_add_i32 s9, s13, s9
	s_ashr_i32 s7, s5, 31
	s_ashr_i32 s12, s6, 31
	s_mul_i32 s15, s5, s16
	s_lshl_b64 s[8:9], s[8:9], 2
	s_mul_hi_u32 s14, s5, s16
	s_mul_i32 s7, s7, s16
	s_mul_i32 s16, s15, s12
	s_waitcnt lgkmcnt(0)
	s_ashr_i32 s13, s2, 31
	s_mov_b32 s12, s2
	s_add_u32 s2, s0, s8
	s_addc_u32 s8, s1, s9
	s_lshl_b64 s[0:1], s[12:13], 2
	s_mul_hi_u32 s9, s15, s6
	s_add_u32 s2, s2, s0
	s_addc_u32 s8, s8, s1
	s_add_i32 s0, s14, s7
	s_add_i32 s1, s9, s16
	s_mul_i32 s7, s0, s6
	s_mul_i32 s0, s15, s6
	s_add_i32 s1, s1, s7
	s_delay_alu instid0(SALU_CYCLE_1) | instskip(NEXT) | instid1(SALU_CYCLE_1)
	s_lshl_b64 s[0:1], s[0:1], 2
	s_add_u32 s0, s10, s0
	s_addc_u32 s1, s11, s1
	s_cmp_eq_u32 s4, 0
	s_cselect_b32 s4, s3, s5
	s_cselect_b32 s6, s2, s0
	v_mad_u64_u32 v[2:3], null, v0, s4, v[1:2]
	v_mov_b32_e32 v3, 0
	s_cselect_b32 s4, s8, s1
	s_cselect_b32 s3, s5, s3
	;; [unrolled: 1-line block ×4, first 2 shown]
	s_delay_alu instid0(VALU_DEP_2) | instskip(NEXT) | instid1(VALU_DEP_1)
	v_lshlrev_b64 v[4:5], 2, v[2:3]
	v_add_co_u32 v4, vcc_lo, s6, v4
	s_delay_alu instid0(VALU_DEP_2) | instskip(SKIP_4) | instid1(VALU_DEP_1)
	v_add_co_ci_u32_e32 v5, vcc_lo, s4, v5, vcc_lo
	global_load_b32 v2, v[4:5], off
	s_waitcnt vmcnt(0)
	v_mad_u64_u32 v[4:5], null, v0, s3, v[1:2]
	v_mov_b32_e32 v5, v3
	v_lshlrev_b64 v[0:1], 2, v[4:5]
	s_delay_alu instid0(VALU_DEP_1) | instskip(NEXT) | instid1(VALU_DEP_2)
	v_add_co_u32 v0, vcc_lo, s0, v0
	v_add_co_ci_u32_e32 v1, vcc_lo, s1, v1, vcc_lo
	global_store_b32 v[0:1], v2, off
.LBB18_14:
	s_nop 0
	s_sendmsg sendmsg(MSG_DEALLOC_VGPRS)
	s_endpgm
	.section	.rodata,"a",@progbits
	.p2align	6, 0x0
	.amdhsa_kernel _ZN9rocsolver6v33100L8copy_matIfPfNS0_9info_maskEEEvNS0_17copymat_directionEiiT0_iilPT_T1_13rocblas_fill_17rocblas_diagonal_
		.amdhsa_group_segment_fixed_size 0
		.amdhsa_private_segment_fixed_size 0
		.amdhsa_kernarg_size 328
		.amdhsa_user_sgpr_count 13
		.amdhsa_user_sgpr_dispatch_ptr 0
		.amdhsa_user_sgpr_queue_ptr 0
		.amdhsa_user_sgpr_kernarg_segment_ptr 1
		.amdhsa_user_sgpr_dispatch_id 0
		.amdhsa_user_sgpr_private_segment_size 0
		.amdhsa_wavefront_size32 1
		.amdhsa_uses_dynamic_stack 0
		.amdhsa_enable_private_segment 0
		.amdhsa_system_sgpr_workgroup_id_x 1
		.amdhsa_system_sgpr_workgroup_id_y 1
		.amdhsa_system_sgpr_workgroup_id_z 1
		.amdhsa_system_sgpr_workgroup_info 0
		.amdhsa_system_vgpr_workitem_id 1
		.amdhsa_next_free_vgpr 6
		.amdhsa_next_free_sgpr 18
		.amdhsa_reserve_vcc 1
		.amdhsa_float_round_mode_32 0
		.amdhsa_float_round_mode_16_64 0
		.amdhsa_float_denorm_mode_32 3
		.amdhsa_float_denorm_mode_16_64 3
		.amdhsa_dx10_clamp 1
		.amdhsa_ieee_mode 1
		.amdhsa_fp16_overflow 0
		.amdhsa_workgroup_processor_mode 1
		.amdhsa_memory_ordered 1
		.amdhsa_forward_progress 0
		.amdhsa_shared_vgpr_count 0
		.amdhsa_exception_fp_ieee_invalid_op 0
		.amdhsa_exception_fp_denorm_src 0
		.amdhsa_exception_fp_ieee_div_zero 0
		.amdhsa_exception_fp_ieee_overflow 0
		.amdhsa_exception_fp_ieee_underflow 0
		.amdhsa_exception_fp_ieee_inexact 0
		.amdhsa_exception_int_div_zero 0
	.end_amdhsa_kernel
	.section	.text._ZN9rocsolver6v33100L8copy_matIfPfNS0_9info_maskEEEvNS0_17copymat_directionEiiT0_iilPT_T1_13rocblas_fill_17rocblas_diagonal_,"axG",@progbits,_ZN9rocsolver6v33100L8copy_matIfPfNS0_9info_maskEEEvNS0_17copymat_directionEiiT0_iilPT_T1_13rocblas_fill_17rocblas_diagonal_,comdat
.Lfunc_end18:
	.size	_ZN9rocsolver6v33100L8copy_matIfPfNS0_9info_maskEEEvNS0_17copymat_directionEiiT0_iilPT_T1_13rocblas_fill_17rocblas_diagonal_, .Lfunc_end18-_ZN9rocsolver6v33100L8copy_matIfPfNS0_9info_maskEEEvNS0_17copymat_directionEiiT0_iilPT_T1_13rocblas_fill_17rocblas_diagonal_
                                        ; -- End function
	.section	.AMDGPU.csdata,"",@progbits
; Kernel info:
; codeLenInByte = 684
; NumSgprs: 20
; NumVgprs: 6
; ScratchSize: 0
; MemoryBound: 0
; FloatMode: 240
; IeeeMode: 1
; LDSByteSize: 0 bytes/workgroup (compile time only)
; SGPRBlocks: 2
; VGPRBlocks: 0
; NumSGPRsForWavesPerEU: 20
; NumVGPRsForWavesPerEU: 6
; Occupancy: 16
; WaveLimiterHint : 0
; COMPUTE_PGM_RSRC2:SCRATCH_EN: 0
; COMPUTE_PGM_RSRC2:USER_SGPR: 13
; COMPUTE_PGM_RSRC2:TRAP_HANDLER: 0
; COMPUTE_PGM_RSRC2:TGID_X_EN: 1
; COMPUTE_PGM_RSRC2:TGID_Y_EN: 1
; COMPUTE_PGM_RSRC2:TGID_Z_EN: 1
; COMPUTE_PGM_RSRC2:TIDIG_COMP_CNT: 1
	.section	.text._ZN9rocsolver6v33100L13gels_set_zeroIfPfEEviiiT0_iilPKi,"axG",@progbits,_ZN9rocsolver6v33100L13gels_set_zeroIfPfEEviiiT0_iilPKi,comdat
	.globl	_ZN9rocsolver6v33100L13gels_set_zeroIfPfEEviiiT0_iilPKi ; -- Begin function _ZN9rocsolver6v33100L13gels_set_zeroIfPfEEviiiT0_iilPKi
	.p2align	8
	.type	_ZN9rocsolver6v33100L13gels_set_zeroIfPfEEviiiT0_iilPKi,@function
_ZN9rocsolver6v33100L13gels_set_zeroIfPfEEviiiT0_iilPKi: ; @_ZN9rocsolver6v33100L13gels_set_zeroIfPfEEviiiT0_iilPKi
; %bb.0:
	s_clause 0x1
	s_load_b32 s2, s[0:1], 0x3c
	s_load_b128 s[4:7], s[0:1], 0x0
	v_and_b32_e32 v2, 0x3ff, v0
	v_bfe_u32 v3, v0, 10, 10
	s_waitcnt lgkmcnt(0)
	s_lshr_b32 s3, s2, 16
	s_and_b32 s2, s2, 0xffff
	s_delay_alu instid0(VALU_DEP_1) | instid1(SALU_CYCLE_1)
	v_mad_u64_u32 v[0:1], null, s13, s2, v[2:3]
	v_mad_u64_u32 v[1:2], null, s14, s3, v[3:4]
	s_sub_i32 s2, s5, s4
	s_delay_alu instid0(VALU_DEP_2) | instid1(SALU_CYCLE_1)
	v_cmp_gt_u32_e32 vcc_lo, s2, v0
	s_delay_alu instid0(VALU_DEP_2) | instskip(NEXT) | instid1(VALU_DEP_1)
	v_cmp_gt_u32_e64 s2, s6, v1
	s_and_b32 s2, s2, vcc_lo
	s_delay_alu instid0(SALU_CYCLE_1)
	s_and_saveexec_b32 s3, s2
	s_cbranch_execz .LBB19_2
; %bb.1:
	s_load_b128 s[8:11], s[0:1], 0x20
	s_mov_b32 s12, s15
	s_mov_b32 s13, 0
	s_delay_alu instid0(SALU_CYCLE_1)
	s_lshl_b64 s[2:3], s[12:13], 2
	s_waitcnt lgkmcnt(0)
	s_add_u32 s2, s10, s2
	s_addc_u32 s3, s11, s3
	s_load_b32 s2, s[2:3], 0x0
	s_waitcnt lgkmcnt(0)
	s_cmp_lg_u32 s2, 0
	s_cbranch_scc0 .LBB19_3
.LBB19_2:
	s_endpgm
.LBB19_3:
	s_load_b128 s[0:3], s[0:1], 0x10
	s_mul_hi_u32 s5, s12, s8
	s_mul_i32 s6, s12, s8
	s_waitcnt lgkmcnt(0)
	v_mul_lo_u32 v2, v1, s3
	s_mul_i32 s3, s12, s9
	v_mov_b32_e32 v1, 0
	s_add_i32 s7, s5, s3
	s_ashr_i32 s3, s2, 31
	s_lshl_b64 s[6:7], s[6:7], 2
	s_delay_alu instid0(VALU_DEP_2) | instskip(SKIP_3) | instid1(SALU_CYCLE_1)
	v_add3_u32 v0, v0, s4, v2
	s_add_u32 s4, s0, s6
	s_addc_u32 s5, s1, s7
	s_lshl_b64 s[0:1], s[2:3], 2
	s_add_u32 s0, s4, s0
	v_lshlrev_b64 v[2:3], 2, v[0:1]
	s_addc_u32 s1, s5, s1
	s_delay_alu instid0(VALU_DEP_1) | instskip(NEXT) | instid1(VALU_DEP_2)
	v_add_co_u32 v2, vcc_lo, s0, v2
	v_add_co_ci_u32_e32 v3, vcc_lo, s1, v3, vcc_lo
	global_store_b32 v[2:3], v1, off
	s_nop 0
	s_sendmsg sendmsg(MSG_DEALLOC_VGPRS)
	s_endpgm
	.section	.rodata,"a",@progbits
	.p2align	6, 0x0
	.amdhsa_kernel _ZN9rocsolver6v33100L13gels_set_zeroIfPfEEviiiT0_iilPKi
		.amdhsa_group_segment_fixed_size 0
		.amdhsa_private_segment_fixed_size 0
		.amdhsa_kernarg_size 304
		.amdhsa_user_sgpr_count 13
		.amdhsa_user_sgpr_dispatch_ptr 0
		.amdhsa_user_sgpr_queue_ptr 0
		.amdhsa_user_sgpr_kernarg_segment_ptr 1
		.amdhsa_user_sgpr_dispatch_id 0
		.amdhsa_user_sgpr_private_segment_size 0
		.amdhsa_wavefront_size32 1
		.amdhsa_uses_dynamic_stack 0
		.amdhsa_enable_private_segment 0
		.amdhsa_system_sgpr_workgroup_id_x 1
		.amdhsa_system_sgpr_workgroup_id_y 1
		.amdhsa_system_sgpr_workgroup_id_z 1
		.amdhsa_system_sgpr_workgroup_info 0
		.amdhsa_system_vgpr_workitem_id 1
		.amdhsa_next_free_vgpr 5
		.amdhsa_next_free_sgpr 16
		.amdhsa_reserve_vcc 1
		.amdhsa_float_round_mode_32 0
		.amdhsa_float_round_mode_16_64 0
		.amdhsa_float_denorm_mode_32 3
		.amdhsa_float_denorm_mode_16_64 3
		.amdhsa_dx10_clamp 1
		.amdhsa_ieee_mode 1
		.amdhsa_fp16_overflow 0
		.amdhsa_workgroup_processor_mode 1
		.amdhsa_memory_ordered 1
		.amdhsa_forward_progress 0
		.amdhsa_shared_vgpr_count 0
		.amdhsa_exception_fp_ieee_invalid_op 0
		.amdhsa_exception_fp_denorm_src 0
		.amdhsa_exception_fp_ieee_div_zero 0
		.amdhsa_exception_fp_ieee_overflow 0
		.amdhsa_exception_fp_ieee_underflow 0
		.amdhsa_exception_fp_ieee_inexact 0
		.amdhsa_exception_int_div_zero 0
	.end_amdhsa_kernel
	.section	.text._ZN9rocsolver6v33100L13gels_set_zeroIfPfEEviiiT0_iilPKi,"axG",@progbits,_ZN9rocsolver6v33100L13gels_set_zeroIfPfEEviiiT0_iilPKi,comdat
.Lfunc_end19:
	.size	_ZN9rocsolver6v33100L13gels_set_zeroIfPfEEviiiT0_iilPKi, .Lfunc_end19-_ZN9rocsolver6v33100L13gels_set_zeroIfPfEEviiiT0_iilPKi
                                        ; -- End function
	.section	.AMDGPU.csdata,"",@progbits
; Kernel info:
; codeLenInByte = 296
; NumSgprs: 18
; NumVgprs: 5
; ScratchSize: 0
; MemoryBound: 0
; FloatMode: 240
; IeeeMode: 1
; LDSByteSize: 0 bytes/workgroup (compile time only)
; SGPRBlocks: 2
; VGPRBlocks: 0
; NumSGPRsForWavesPerEU: 18
; NumVGPRsForWavesPerEU: 5
; Occupancy: 16
; WaveLimiterHint : 0
; COMPUTE_PGM_RSRC2:SCRATCH_EN: 0
; COMPUTE_PGM_RSRC2:USER_SGPR: 13
; COMPUTE_PGM_RSRC2:TRAP_HANDLER: 0
; COMPUTE_PGM_RSRC2:TGID_X_EN: 1
; COMPUTE_PGM_RSRC2:TGID_Y_EN: 1
; COMPUTE_PGM_RSRC2:TGID_Z_EN: 1
; COMPUTE_PGM_RSRC2:TIDIG_COMP_CNT: 1
	.section	.text._ZN9rocsolver6v33100L6iota_nIdEEvPT_jS2_,"axG",@progbits,_ZN9rocsolver6v33100L6iota_nIdEEvPT_jS2_,comdat
	.globl	_ZN9rocsolver6v33100L6iota_nIdEEvPT_jS2_ ; -- Begin function _ZN9rocsolver6v33100L6iota_nIdEEvPT_jS2_
	.p2align	8
	.type	_ZN9rocsolver6v33100L6iota_nIdEEvPT_jS2_,@function
_ZN9rocsolver6v33100L6iota_nIdEEvPT_jS2_: ; @_ZN9rocsolver6v33100L6iota_nIdEEvPT_jS2_
; %bb.0:
	s_load_b32 s2, s[0:1], 0x8
	s_waitcnt lgkmcnt(0)
	v_cmp_gt_u32_e32 vcc_lo, s2, v0
	s_and_saveexec_b32 s2, vcc_lo
	s_cbranch_execz .LBB20_2
; %bb.1:
	v_cvt_f64_u32_e32 v[1:2], v0
	s_clause 0x1
	s_load_b64 s[2:3], s[0:1], 0x10
	s_load_b64 s[0:1], s[0:1], 0x0
	v_lshlrev_b32_e32 v0, 3, v0
	s_waitcnt lgkmcnt(0)
	s_delay_alu instid0(VALU_DEP_2)
	v_add_f64 v[1:2], v[1:2], s[2:3]
	global_store_b64 v0, v[1:2], s[0:1]
.LBB20_2:
	s_nop 0
	s_sendmsg sendmsg(MSG_DEALLOC_VGPRS)
	s_endpgm
	.section	.rodata,"a",@progbits
	.p2align	6, 0x0
	.amdhsa_kernel _ZN9rocsolver6v33100L6iota_nIdEEvPT_jS2_
		.amdhsa_group_segment_fixed_size 0
		.amdhsa_private_segment_fixed_size 0
		.amdhsa_kernarg_size 24
		.amdhsa_user_sgpr_count 15
		.amdhsa_user_sgpr_dispatch_ptr 0
		.amdhsa_user_sgpr_queue_ptr 0
		.amdhsa_user_sgpr_kernarg_segment_ptr 1
		.amdhsa_user_sgpr_dispatch_id 0
		.amdhsa_user_sgpr_private_segment_size 0
		.amdhsa_wavefront_size32 1
		.amdhsa_uses_dynamic_stack 0
		.amdhsa_enable_private_segment 0
		.amdhsa_system_sgpr_workgroup_id_x 1
		.amdhsa_system_sgpr_workgroup_id_y 0
		.amdhsa_system_sgpr_workgroup_id_z 0
		.amdhsa_system_sgpr_workgroup_info 0
		.amdhsa_system_vgpr_workitem_id 0
		.amdhsa_next_free_vgpr 3
		.amdhsa_next_free_sgpr 4
		.amdhsa_reserve_vcc 1
		.amdhsa_float_round_mode_32 0
		.amdhsa_float_round_mode_16_64 0
		.amdhsa_float_denorm_mode_32 3
		.amdhsa_float_denorm_mode_16_64 3
		.amdhsa_dx10_clamp 1
		.amdhsa_ieee_mode 1
		.amdhsa_fp16_overflow 0
		.amdhsa_workgroup_processor_mode 1
		.amdhsa_memory_ordered 1
		.amdhsa_forward_progress 0
		.amdhsa_shared_vgpr_count 0
		.amdhsa_exception_fp_ieee_invalid_op 0
		.amdhsa_exception_fp_denorm_src 0
		.amdhsa_exception_fp_ieee_div_zero 0
		.amdhsa_exception_fp_ieee_overflow 0
		.amdhsa_exception_fp_ieee_underflow 0
		.amdhsa_exception_fp_ieee_inexact 0
		.amdhsa_exception_int_div_zero 0
	.end_amdhsa_kernel
	.section	.text._ZN9rocsolver6v33100L6iota_nIdEEvPT_jS2_,"axG",@progbits,_ZN9rocsolver6v33100L6iota_nIdEEvPT_jS2_,comdat
.Lfunc_end20:
	.size	_ZN9rocsolver6v33100L6iota_nIdEEvPT_jS2_, .Lfunc_end20-_ZN9rocsolver6v33100L6iota_nIdEEvPT_jS2_
                                        ; -- End function
	.section	.AMDGPU.csdata,"",@progbits
; Kernel info:
; codeLenInByte = 88
; NumSgprs: 6
; NumVgprs: 3
; ScratchSize: 0
; MemoryBound: 0
; FloatMode: 240
; IeeeMode: 1
; LDSByteSize: 0 bytes/workgroup (compile time only)
; SGPRBlocks: 0
; VGPRBlocks: 0
; NumSGPRsForWavesPerEU: 6
; NumVGPRsForWavesPerEU: 3
; Occupancy: 16
; WaveLimiterHint : 0
; COMPUTE_PGM_RSRC2:SCRATCH_EN: 0
; COMPUTE_PGM_RSRC2:USER_SGPR: 15
; COMPUTE_PGM_RSRC2:TRAP_HANDLER: 0
; COMPUTE_PGM_RSRC2:TGID_X_EN: 1
; COMPUTE_PGM_RSRC2:TGID_Y_EN: 0
; COMPUTE_PGM_RSRC2:TGID_Z_EN: 0
; COMPUTE_PGM_RSRC2:TIDIG_COMP_CNT: 0
	.section	.text._ZN9rocsolver6v33100L8set_zeroIdPdEEviiT0_iil13rocblas_fill_,"axG",@progbits,_ZN9rocsolver6v33100L8set_zeroIdPdEEviiT0_iil13rocblas_fill_,comdat
	.globl	_ZN9rocsolver6v33100L8set_zeroIdPdEEviiT0_iil13rocblas_fill_ ; -- Begin function _ZN9rocsolver6v33100L8set_zeroIdPdEEviiT0_iil13rocblas_fill_
	.p2align	8
	.type	_ZN9rocsolver6v33100L8set_zeroIdPdEEviiT0_iil13rocblas_fill_,@function
_ZN9rocsolver6v33100L8set_zeroIdPdEEviiT0_iil13rocblas_fill_: ; @_ZN9rocsolver6v33100L8set_zeroIdPdEEviiT0_iil13rocblas_fill_
; %bb.0:
	s_clause 0x1
	s_load_b32 s4, s[0:1], 0x34
	s_load_b64 s[2:3], s[0:1], 0x0
	v_and_b32_e32 v2, 0x3ff, v0
	v_bfe_u32 v3, v0, 10, 10
	s_waitcnt lgkmcnt(0)
	s_lshr_b32 s5, s4, 16
	s_and_b32 s4, s4, 0xffff
	s_delay_alu instid0(VALU_DEP_1) | instid1(SALU_CYCLE_1)
	v_mad_u64_u32 v[0:1], null, s13, s4, v[2:3]
	v_mad_u64_u32 v[1:2], null, s14, s5, v[3:4]
	s_delay_alu instid0(VALU_DEP_2) | instskip(NEXT) | instid1(VALU_DEP_2)
	v_cmp_gt_u32_e32 vcc_lo, s2, v0
	v_cmp_gt_u32_e64 s2, s3, v1
	s_delay_alu instid0(VALU_DEP_1) | instskip(NEXT) | instid1(SALU_CYCLE_1)
	s_and_b32 s2, vcc_lo, s2
	s_and_saveexec_b32 s3, s2
	s_cbranch_execz .LBB21_12
; %bb.1:
	s_load_b32 s3, s[0:1], 0x20
	s_waitcnt lgkmcnt(0)
	s_cmpk_lt_i32 s3, 0x7a
	s_cbranch_scc1 .LBB21_4
; %bb.2:
	s_cmpk_gt_i32 s3, 0x7a
	s_cbranch_scc0 .LBB21_5
; %bb.3:
	s_cmpk_eq_i32 s3, 0x7b
	s_cselect_b32 s2, -1, 0
	s_cbranch_execz .LBB21_6
	s_branch .LBB21_7
.LBB21_4:
	s_mov_b32 s2, 0
	s_cbranch_execnz .LBB21_8
	s_branch .LBB21_10
.LBB21_5:
	s_mov_b32 s2, 0
.LBB21_6:
	v_cmp_gt_u32_e32 vcc_lo, v1, v0
	s_and_not1_b32 s2, s2, exec_lo
	s_and_b32 s4, vcc_lo, exec_lo
	s_delay_alu instid0(SALU_CYCLE_1)
	s_or_b32 s2, s2, s4
.LBB21_7:
	s_branch .LBB21_10
.LBB21_8:
	s_cmpk_eq_i32 s3, 0x79
	s_cbranch_scc0 .LBB21_10
; %bb.9:
	v_cmp_gt_u32_e32 vcc_lo, v0, v1
	s_and_not1_b32 s2, s2, exec_lo
	s_and_b32 s3, vcc_lo, exec_lo
	s_delay_alu instid0(SALU_CYCLE_1)
	s_or_b32 s2, s2, s3
.LBB21_10:
	s_delay_alu instid0(SALU_CYCLE_1)
	s_and_b32 exec_lo, exec_lo, s2
	s_cbranch_execz .LBB21_12
; %bb.11:
	s_clause 0x1
	s_load_b128 s[4:7], s[0:1], 0x8
	s_load_b64 s[0:1], s[0:1], 0x18
	s_waitcnt lgkmcnt(0)
	v_mad_u64_u32 v[2:3], null, v1, s7, v[0:1]
	s_mul_i32 s1, s15, s1
	s_mul_hi_u32 s2, s15, s0
	v_mov_b32_e32 v3, 0
	s_mul_i32 s0, s15, s0
	s_add_i32 s1, s2, s1
	s_ashr_i32 s3, s6, 31
	s_lshl_b64 s[0:1], s[0:1], 3
	s_mov_b32 s2, s6
	v_lshlrev_b64 v[0:1], 3, v[2:3]
	s_add_u32 s4, s4, s0
	s_addc_u32 s5, s5, s1
	s_lshl_b64 s[0:1], s[2:3], 3
	v_mov_b32_e32 v2, v3
	s_add_u32 s0, s4, s0
	s_addc_u32 s1, s5, s1
	v_add_co_u32 v0, vcc_lo, s0, v0
	v_add_co_ci_u32_e32 v1, vcc_lo, s1, v1, vcc_lo
	global_store_b64 v[0:1], v[2:3], off
.LBB21_12:
	s_nop 0
	s_sendmsg sendmsg(MSG_DEALLOC_VGPRS)
	s_endpgm
	.section	.rodata,"a",@progbits
	.p2align	6, 0x0
	.amdhsa_kernel _ZN9rocsolver6v33100L8set_zeroIdPdEEviiT0_iil13rocblas_fill_
		.amdhsa_group_segment_fixed_size 0
		.amdhsa_private_segment_fixed_size 0
		.amdhsa_kernarg_size 296
		.amdhsa_user_sgpr_count 13
		.amdhsa_user_sgpr_dispatch_ptr 0
		.amdhsa_user_sgpr_queue_ptr 0
		.amdhsa_user_sgpr_kernarg_segment_ptr 1
		.amdhsa_user_sgpr_dispatch_id 0
		.amdhsa_user_sgpr_private_segment_size 0
		.amdhsa_wavefront_size32 1
		.amdhsa_uses_dynamic_stack 0
		.amdhsa_enable_private_segment 0
		.amdhsa_system_sgpr_workgroup_id_x 1
		.amdhsa_system_sgpr_workgroup_id_y 1
		.amdhsa_system_sgpr_workgroup_id_z 1
		.amdhsa_system_sgpr_workgroup_info 0
		.amdhsa_system_vgpr_workitem_id 1
		.amdhsa_next_free_vgpr 5
		.amdhsa_next_free_sgpr 16
		.amdhsa_reserve_vcc 1
		.amdhsa_float_round_mode_32 0
		.amdhsa_float_round_mode_16_64 0
		.amdhsa_float_denorm_mode_32 3
		.amdhsa_float_denorm_mode_16_64 3
		.amdhsa_dx10_clamp 1
		.amdhsa_ieee_mode 1
		.amdhsa_fp16_overflow 0
		.amdhsa_workgroup_processor_mode 1
		.amdhsa_memory_ordered 1
		.amdhsa_forward_progress 0
		.amdhsa_shared_vgpr_count 0
		.amdhsa_exception_fp_ieee_invalid_op 0
		.amdhsa_exception_fp_denorm_src 0
		.amdhsa_exception_fp_ieee_div_zero 0
		.amdhsa_exception_fp_ieee_overflow 0
		.amdhsa_exception_fp_ieee_underflow 0
		.amdhsa_exception_fp_ieee_inexact 0
		.amdhsa_exception_int_div_zero 0
	.end_amdhsa_kernel
	.section	.text._ZN9rocsolver6v33100L8set_zeroIdPdEEviiT0_iil13rocblas_fill_,"axG",@progbits,_ZN9rocsolver6v33100L8set_zeroIdPdEEviiT0_iil13rocblas_fill_,comdat
.Lfunc_end21:
	.size	_ZN9rocsolver6v33100L8set_zeroIdPdEEviiT0_iil13rocblas_fill_, .Lfunc_end21-_ZN9rocsolver6v33100L8set_zeroIdPdEEviiT0_iil13rocblas_fill_
                                        ; -- End function
	.section	.AMDGPU.csdata,"",@progbits
; Kernel info:
; codeLenInByte = 356
; NumSgprs: 18
; NumVgprs: 5
; ScratchSize: 0
; MemoryBound: 0
; FloatMode: 240
; IeeeMode: 1
; LDSByteSize: 0 bytes/workgroup (compile time only)
; SGPRBlocks: 2
; VGPRBlocks: 0
; NumSGPRsForWavesPerEU: 18
; NumVGPRsForWavesPerEU: 5
; Occupancy: 16
; WaveLimiterHint : 0
; COMPUTE_PGM_RSRC2:SCRATCH_EN: 0
; COMPUTE_PGM_RSRC2:USER_SGPR: 13
; COMPUTE_PGM_RSRC2:TRAP_HANDLER: 0
; COMPUTE_PGM_RSRC2:TGID_X_EN: 1
; COMPUTE_PGM_RSRC2:TGID_Y_EN: 1
; COMPUTE_PGM_RSRC2:TGID_Z_EN: 1
; COMPUTE_PGM_RSRC2:TIDIG_COMP_CNT: 1
	.section	.text._ZN9rocsolver6v33100L18geqr2_kernel_smallILi256EdidPdEEvT1_S3_T3_lS3_lPT2_lPT0_l,"axG",@progbits,_ZN9rocsolver6v33100L18geqr2_kernel_smallILi256EdidPdEEvT1_S3_T3_lS3_lPT2_lPT0_l,comdat
	.globl	_ZN9rocsolver6v33100L18geqr2_kernel_smallILi256EdidPdEEvT1_S3_T3_lS3_lPT2_lPT0_l ; -- Begin function _ZN9rocsolver6v33100L18geqr2_kernel_smallILi256EdidPdEEvT1_S3_T3_lS3_lPT2_lPT0_l
	.p2align	8
	.type	_ZN9rocsolver6v33100L18geqr2_kernel_smallILi256EdidPdEEvT1_S3_T3_lS3_lPT2_lPT0_l,@function
_ZN9rocsolver6v33100L18geqr2_kernel_smallILi256EdidPdEEvT1_S3_T3_lS3_lPT2_lPT0_l: ; @_ZN9rocsolver6v33100L18geqr2_kernel_smallILi256EdidPdEEvT1_S3_T3_lS3_lPT2_lPT0_l
; %bb.0:
	s_clause 0x4
	s_load_b256 s[4:11], s[0:1], 0x20
	s_load_b64 s[12:13], s[0:1], 0x0
	s_load_b128 s[24:27], s[0:1], 0x8
	s_load_b32 s17, s[0:1], 0x18
	s_load_b64 s[2:3], s[0:1], 0x40
	s_ashr_i32 s21, s15, 31
	v_and_b32_e32 v1, 0x7f, v0
	v_lshrrev_b32_e32 v11, 7, v0
	s_delay_alu instid0(VALU_DEP_2)
	v_lshlrev_b32_e32 v12, 3, v1
	s_waitcnt lgkmcnt(0)
	s_mul_i32 s0, s15, s5
	s_mul_hi_u32 s1, s15, s4
	s_mul_i32 s5, s21, s4
	s_add_i32 s1, s1, s0
	s_mul_i32 s0, s15, s4
	s_add_i32 s1, s1, s5
	s_delay_alu instid0(SALU_CYCLE_1) | instskip(SKIP_4) | instid1(SALU_CYCLE_1)
	s_lshl_b64 s[4:5], s[0:1], 3
	v_cmp_gt_i32_e64 s0, s12, v1
	s_add_u32 s1, s24, s4
	s_addc_u32 s16, s25, s5
	s_lshl_b64 s[4:5], s[26:27], 3
	s_add_u32 s14, s1, s4
	s_addc_u32 s16, s16, s5
	s_and_saveexec_b32 s4, s0
	s_cbranch_execz .LBB22_6
; %bb.1:
	v_lshrrev_b32_e32 v5, 7, v0
	s_mov_b32 s5, 0
	s_lshl_b32 s18, s12, 4
	s_lshl_b32 s19, s17, 1
	v_mov_b32_e32 v7, v1
	v_mul_lo_u32 v2, s12, v5
	v_cmp_gt_i32_e32 vcc_lo, s13, v5
	s_delay_alu instid0(VALU_DEP_2) | instskip(SKIP_1) | instid1(VALU_DEP_2)
	v_lshlrev_b32_e32 v4, 3, v2
	v_mad_u64_u32 v[2:3], null, s17, v5, v[1:2]
	v_add3_u32 v6, v4, v12, 0
	s_set_inst_prefetch_distance 0x1
	s_branch .LBB22_3
	.p2align	6
.LBB22_2:                               ;   in Loop: Header=BB22_3 Depth=1
	s_or_b32 exec_lo, exec_lo, s20
	v_add_nc_u32_e32 v7, 0x80, v7
	v_add_nc_u32_e32 v6, 0x400, v6
	;; [unrolled: 1-line block ×3, first 2 shown]
	s_delay_alu instid0(VALU_DEP_3) | instskip(NEXT) | instid1(VALU_DEP_1)
	v_cmp_le_i32_e64 s1, s12, v7
	s_or_b32 s5, s1, s5
	s_delay_alu instid0(SALU_CYCLE_1)
	s_and_not1_b32 exec_lo, exec_lo, s5
	s_cbranch_execz .LBB22_6
.LBB22_3:                               ; =>This Loop Header: Depth=1
                                        ;     Child Loop BB22_5 Depth 2
	s_and_saveexec_b32 s20, vcc_lo
	s_cbranch_execz .LBB22_2
; %bb.4:                                ;   in Loop: Header=BB22_3 Depth=1
	s_delay_alu instid0(VALU_DEP_2)
	v_mov_b32_e32 v3, v2
	v_dual_mov_b32 v8, v6 :: v_dual_mov_b32 v9, v5
	s_mov_b32 s22, 0
	.p2align	6
.LBB22_5:                               ;   Parent Loop BB22_3 Depth=1
                                        ; =>  This Inner Loop Header: Depth=2
	s_delay_alu instid0(VALU_DEP_2) | instskip(NEXT) | instid1(VALU_DEP_2)
	v_ashrrev_i32_e32 v4, 31, v3
	v_add_nc_u32_e32 v9, 2, v9
	s_delay_alu instid0(VALU_DEP_2) | instskip(SKIP_1) | instid1(VALU_DEP_2)
	v_lshlrev_b64 v[13:14], 3, v[3:4]
	v_add_nc_u32_e32 v3, s19, v3
	v_add_co_u32 v13, s1, s14, v13
	s_delay_alu instid0(VALU_DEP_1)
	v_add_co_ci_u32_e64 v14, s1, s16, v14, s1
	v_cmp_le_i32_e64 s1, s13, v9
	global_load_b64 v[13:14], v[13:14], off
	s_or_b32 s22, s1, s22
	s_waitcnt vmcnt(0)
	ds_store_b64 v8, v[13:14]
	v_add_nc_u32_e32 v8, s18, v8
	s_and_not1_b32 exec_lo, exec_lo, s22
	s_cbranch_execnz .LBB22_5
	s_branch .LBB22_2
.LBB22_6:
	s_set_inst_prefetch_distance 0x2
	s_or_b32 exec_lo, exec_lo, s4
	s_min_i32 s18, s13, s12
	s_waitcnt lgkmcnt(0)
	s_cmp_lt_i32 s18, 1
	s_barrier
	buffer_gl0_inv
	s_cbranch_scc1 .LBB22_43
; %bb.7:
	v_mbcnt_lo_u32_b32 v2, -1, 0
	s_mul_i32 s1, s15, s9
	s_mul_hi_u32 s4, s15, s8
	s_mul_i32 s5, s21, s8
	s_add_i32 s1, s4, s1
	v_cmp_ne_u32_e32 vcc_lo, 31, v2
	s_mul_i32 s4, s15, s8
	s_add_i32 s5, s1, s5
	s_mul_i32 s1, s15, s3
	s_lshl_b64 s[4:5], s[4:5], 3
	v_add_co_ci_u32_e32 v3, vcc_lo, 0, v2, vcc_lo
	v_cmp_gt_u32_e32 vcc_lo, 30, v2
	s_mul_hi_u32 s3, s15, s2
	s_add_u32 s19, s6, s4
	s_addc_u32 s20, s7, s5
	s_add_i32 s1, s3, s1
	v_cndmask_b32_e64 v4, 0, 1, vcc_lo
	v_cmp_gt_u32_e32 vcc_lo, 28, v2
	s_mul_i32 s3, s21, s2
	s_mul_i32 s2, s15, s2
	s_add_i32 s3, s1, s3
	s_mul_i32 s1, s13, s12
	v_cndmask_b32_e64 v5, 0, 1, vcc_lo
	v_cmp_gt_u32_e32 vcc_lo, 24, v2
	s_lshl_b64 s[2:3], s[2:3], 3
	v_lshlrev_b32_e32 v13, 2, v3
	v_lshlrev_b32_e32 v3, 1, v4
	;; [unrolled: 1-line block ×3, first 2 shown]
	v_cndmask_b32_e64 v6, 0, 1, vcc_lo
	v_cmp_gt_u32_e32 vcc_lo, 16, v2
	s_add_u32 s15, s10, s2
	s_addc_u32 s21, s11, s3
	s_lshl_b32 s1, s1, 3
	v_lshlrev_b32_e32 v5, 3, v6
	v_cndmask_b32_e64 v7, 0, 1, vcc_lo
	s_add_i32 s22, s1, 0
	s_lshl_b32 s1, s13, 3
	v_add_lshl_u32 v14, v3, v2, 2
	v_add_lshl_u32 v15, v4, v2, 2
	v_lshlrev_b32_e32 v6, 4, v7
	v_add_lshl_u32 v16, v5, v2, 2
	s_add_i32 s23, s22, s1
	s_cmp_eq_u64 s[6:7], 0
	v_and_b32_e32 v7, 31, v0
	v_add_lshl_u32 v17, v6, v2, 2
	v_mad_u64_u32 v[2:3], null, s12, v0, s[12:13]
	v_lshrrev_b32_e32 v4, 2, v0
	v_lshlrev_b32_e32 v3, 3, v0
	s_cselect_b32 s24, -1, 0
	s_cmp_lg_u64 s[6:7], 0
	v_cmp_eq_u32_e64 s1, 0, v7
	s_cselect_b32 s25, -1, 0
	s_lshl_b32 s26, s12, 3
	v_cmp_eq_u32_e64 s2, 0, v0
	v_add3_u32 v18, v3, 0, 8
	v_lshl_add_u32 v19, v2, 3, 0
	v_mov_b32_e32 v2, 0
	v_add3_u32 v20, 0, s26, v3
	v_add_nc_u32_e32 v21, s23, v4
	s_mov_b32 s9, 0
	s_add_i32 s27, s26, 8
	s_lshl_b32 s28, s12, 11
	s_mov_b32 s29, 0
	s_mov_b32 s8, s9
	s_branch .LBB22_9
.LBB22_8:                               ;   in Loop: Header=BB22_9 Depth=1
	s_set_inst_prefetch_distance 0x2
	s_or_b32 exec_lo, exec_lo, s4
	v_add_nc_u32_e32 v18, s27, v18
	v_add_nc_u32_e32 v19, s27, v19
	v_add_nc_u32_e32 v20, s27, v20
	s_add_i32 s8, s8, 1
	s_add_i32 s29, s29, s27
	s_cmp_eq_u32 s8, s18
	s_waitcnt lgkmcnt(0)
	s_barrier
	buffer_gl0_inv
	s_cbranch_scc1 .LBB22_43
.LBB22_9:                               ; =>This Loop Header: Depth=1
                                        ;     Child Loop BB22_11 Depth 2
                                        ;     Child Loop BB22_30 Depth 2
	;; [unrolled: 1-line block ×3, first 2 shown]
                                        ;       Child Loop BB22_36 Depth 3
                                        ;     Child Loop BB22_40 Depth 2
                                        ;       Child Loop BB22_42 Depth 3
	s_sub_i32 s30, s12, s8
	v_mov_b32_e32 v3, 0
	s_add_i32 s33, s30, -1
	v_mov_b32_e32 v4, 0
	v_cmp_gt_i32_e64 s3, s33, v0
	s_delay_alu instid0(VALU_DEP_1)
	s_and_saveexec_b32 s4, s3
	s_cbranch_execz .LBB22_13
; %bb.10:                               ;   in Loop: Header=BB22_9 Depth=1
	v_dual_mov_b32 v3, 0 :: v_dual_mov_b32 v6, v0
	v_dual_mov_b32 v4, 0 :: v_dual_mov_b32 v5, v18
	s_mov_b32 s5, 0
.LBB22_11:                              ;   Parent Loop BB22_9 Depth=1
                                        ; =>  This Inner Loop Header: Depth=2
	ds_load_b64 v[7:8], v5
	v_add_nc_u32_e32 v6, 0x100, v6
	v_add_nc_u32_e32 v5, 0x800, v5
	s_delay_alu instid0(VALU_DEP_2) | instskip(SKIP_3) | instid1(VALU_DEP_1)
	v_cmp_le_i32_e32 vcc_lo, s33, v6
	s_or_b32 s5, vcc_lo, s5
	s_waitcnt lgkmcnt(0)
	v_mul_f64 v[7:8], v[7:8], v[7:8]
	v_add_f64 v[3:4], v[3:4], v[7:8]
	s_and_not1_b32 exec_lo, exec_lo, s5
	s_cbranch_execnz .LBB22_11
; %bb.12:                               ;   in Loop: Header=BB22_9 Depth=1
	s_or_b32 exec_lo, exec_lo, s5
.LBB22_13:                              ;   in Loop: Header=BB22_9 Depth=1
	s_delay_alu instid0(SALU_CYCLE_1)
	s_or_b32 exec_lo, exec_lo, s4
	ds_bpermute_b32 v5, v13, v3
	ds_bpermute_b32 v6, v13, v4
	s_waitcnt lgkmcnt(0)
	v_add_f64 v[3:4], v[3:4], v[5:6]
	ds_bpermute_b32 v5, v14, v3
	ds_bpermute_b32 v6, v14, v4
	s_waitcnt lgkmcnt(0)
	v_add_f64 v[3:4], v[3:4], v[5:6]
	;; [unrolled: 4-line block ×5, first 2 shown]
	s_and_saveexec_b32 s4, s1
	s_cbranch_execz .LBB22_15
; %bb.14:                               ;   in Loop: Header=BB22_9 Depth=1
	ds_store_b64 v21, v[3:4] offset:8
.LBB22_15:                              ;   in Loop: Header=BB22_9 Depth=1
	s_or_b32 exec_lo, exec_lo, s4
	s_lshl_b32 s4, s8, 3
	s_mul_i32 s5, s8, s12
	s_add_i32 s31, s4, 0
	s_lshl_b32 s4, s5, 3
	s_waitcnt lgkmcnt(0)
	s_add_i32 s31, s31, s4
	s_barrier
	buffer_gl0_inv
	s_and_saveexec_b32 s34, s2
	s_cbranch_execz .LBB22_28
; %bb.16:                               ;   in Loop: Header=BB22_9 Depth=1
	v_mov_b32_e32 v9, s23
	s_mov_b32 s36, 0
	s_mov_b32 s35, 0
	s_mov_b32 s37, exec_lo
                                        ; implicit-def: $sgpr6_sgpr7
                                        ; implicit-def: $sgpr10_sgpr11
                                        ; implicit-def: $sgpr4_sgpr5
	ds_load_2addr_b64 v[5:8], v9 offset0:2 offset1:3
	ds_load_2addr_b64 v[22:25], v9 offset0:4 offset1:5
	s_waitcnt lgkmcnt(1)
	v_add_f64 v[3:4], v[3:4], v[5:6]
	s_delay_alu instid0(VALU_DEP_1) | instskip(SKIP_1) | instid1(VALU_DEP_1)
	v_add_f64 v[3:4], v[3:4], v[7:8]
	s_waitcnt lgkmcnt(0)
	v_add_f64 v[3:4], v[3:4], v[22:23]
	s_delay_alu instid0(VALU_DEP_1) | instskip(SKIP_4) | instid1(VALU_DEP_1)
	v_add_f64 v[7:8], v[3:4], v[24:25]
	ds_load_2addr_b64 v[3:6], v9 offset0:6 offset1:7
	ds_load_b64 v[9:10], v9 offset:64
	s_waitcnt lgkmcnt(1)
	v_add_f64 v[3:4], v[7:8], v[3:4]
	v_add_f64 v[3:4], v[3:4], v[5:6]
	s_waitcnt lgkmcnt(0)
	s_delay_alu instid0(VALU_DEP_1) | instskip(NEXT) | instid1(VALU_DEP_1)
	v_add_f64 v[7:8], v[3:4], v[9:10]
                                        ; implicit-def: $vgpr3_vgpr4
	v_cmpx_nlt_f64_e32 0, v[7:8]
	s_xor_b32 s37, exec_lo, s37
	s_cbranch_execz .LBB22_21
; %bb.17:                               ;   in Loop: Header=BB22_9 Depth=1
	v_dual_mov_b32 v3, v2 :: v_dual_mov_b32 v4, s23
	s_and_b32 vcc_lo, exec_lo, s25
	ds_store_b64 v4, v[2:3]
	s_cbranch_vccz .LBB22_19
; %bb.18:                               ;   in Loop: Header=BB22_9 Depth=1
	v_mov_b32_e32 v3, s31
	s_mov_b32 s35, -1
	s_mov_b64 s[4:5], 1.0
	ds_load_b64 v[3:4], v3
	s_branch .LBB22_20
.LBB22_19:                              ;   in Loop: Header=BB22_9 Depth=1
                                        ; implicit-def: $vgpr3_vgpr4
                                        ; implicit-def: $sgpr4_sgpr5
.LBB22_20:                              ;   in Loop: Header=BB22_9 Depth=1
	s_mov_b64 s[10:11], 0
	s_mov_b64 s[6:7], 1.0
	s_and_b32 s35, s35, exec_lo
                                        ; implicit-def: $vgpr7_vgpr8
.LBB22_21:                              ;   in Loop: Header=BB22_9 Depth=1
	s_or_saveexec_b32 s37, s37
	v_dual_mov_b32 v6, s5 :: v_dual_mov_b32 v5, s4
	s_xor_b32 exec_lo, exec_lo, s37
	s_cbranch_execz .LBB22_23
; %bb.22:                               ;   in Loop: Header=BB22_9 Depth=1
	s_waitcnt lgkmcnt(0)
	v_mov_b32_e32 v3, s31
	s_and_b32 s5, s25, exec_lo
	s_and_b32 s36, s24, exec_lo
	ds_load_b64 v[5:6], v3
	s_waitcnt lgkmcnt(0)
	v_fma_f64 v[3:4], v[5:6], v[5:6], v[7:8]
	s_delay_alu instid0(VALU_DEP_1) | instskip(SKIP_1) | instid1(VALU_DEP_1)
	v_cmp_gt_f64_e32 vcc_lo, 0x10000000, v[3:4]
	v_cndmask_b32_e64 v7, 0, 1, vcc_lo
	v_lshlrev_b32_e32 v7, 8, v7
	s_delay_alu instid0(VALU_DEP_1) | instskip(NEXT) | instid1(VALU_DEP_1)
	v_ldexp_f64 v[3:4], v[3:4], v7
	v_rsq_f64_e32 v[7:8], v[3:4]
	s_waitcnt_depctr 0xfff
	v_mul_f64 v[9:10], v[3:4], v[7:8]
	v_mul_f64 v[7:8], v[7:8], 0.5
	s_delay_alu instid0(VALU_DEP_1) | instskip(NEXT) | instid1(VALU_DEP_1)
	v_fma_f64 v[22:23], -v[7:8], v[9:10], 0.5
	v_fma_f64 v[9:10], v[9:10], v[22:23], v[9:10]
	v_fma_f64 v[7:8], v[7:8], v[22:23], v[7:8]
	s_delay_alu instid0(VALU_DEP_2) | instskip(NEXT) | instid1(VALU_DEP_1)
	v_fma_f64 v[22:23], -v[9:10], v[9:10], v[3:4]
	v_fma_f64 v[9:10], v[22:23], v[7:8], v[9:10]
	s_delay_alu instid0(VALU_DEP_1) | instskip(NEXT) | instid1(VALU_DEP_1)
	v_fma_f64 v[22:23], -v[9:10], v[9:10], v[3:4]
	v_fma_f64 v[7:8], v[22:23], v[7:8], v[9:10]
	v_cndmask_b32_e64 v9, 0, 0xffffff80, vcc_lo
	v_cmp_class_f64_e64 vcc_lo, v[3:4], 0x260
	s_delay_alu instid0(VALU_DEP_2) | instskip(NEXT) | instid1(VALU_DEP_1)
	v_ldexp_f64 v[7:8], v[7:8], v9
	v_dual_cndmask_b32 v4, v8, v4 :: v_dual_cndmask_b32 v3, v7, v3
	v_cmp_le_f64_e32 vcc_lo, 0, v[5:6]
	s_delay_alu instid0(VALU_DEP_2) | instskip(NEXT) | instid1(VALU_DEP_1)
	v_xor_b32_e32 v7, 0x80000000, v4
	v_cndmask_b32_e32 v4, v4, v7, vcc_lo
	s_delay_alu instid0(VALU_DEP_1) | instskip(SKIP_1) | instid1(VALU_DEP_2)
	v_add_f64 v[7:8], v[5:6], -v[3:4]
	v_add_f64 v[5:6], v[3:4], -v[5:6]
	v_div_scale_f64 v[9:10], null, v[7:8], v[7:8], 1.0
	s_delay_alu instid0(VALU_DEP_2) | instskip(SKIP_1) | instid1(VALU_DEP_3)
	v_div_scale_f64 v[22:23], null, v[3:4], v[3:4], v[5:6]
	v_div_scale_f64 v[32:33], vcc_lo, 1.0, v[7:8], 1.0
	v_rcp_f64_e32 v[24:25], v[9:10]
	s_delay_alu instid0(VALU_DEP_2) | instskip(SKIP_3) | instid1(VALU_DEP_2)
	v_rcp_f64_e32 v[26:27], v[22:23]
	s_waitcnt_depctr 0xfff
	v_fma_f64 v[28:29], -v[9:10], v[24:25], 1.0
	v_fma_f64 v[30:31], -v[22:23], v[26:27], 1.0
	v_fma_f64 v[24:25], v[24:25], v[28:29], v[24:25]
	s_delay_alu instid0(VALU_DEP_2) | instskip(NEXT) | instid1(VALU_DEP_2)
	v_fma_f64 v[26:27], v[26:27], v[30:31], v[26:27]
	v_fma_f64 v[28:29], -v[9:10], v[24:25], 1.0
	s_delay_alu instid0(VALU_DEP_2) | instskip(NEXT) | instid1(VALU_DEP_2)
	v_fma_f64 v[30:31], -v[22:23], v[26:27], 1.0
	v_fma_f64 v[24:25], v[24:25], v[28:29], v[24:25]
	v_div_scale_f64 v[28:29], s4, v[5:6], v[3:4], v[5:6]
	s_delay_alu instid0(VALU_DEP_3) | instskip(NEXT) | instid1(VALU_DEP_3)
	v_fma_f64 v[26:27], v[26:27], v[30:31], v[26:27]
	v_mul_f64 v[30:31], v[32:33], v[24:25]
	s_delay_alu instid0(VALU_DEP_2) | instskip(NEXT) | instid1(VALU_DEP_2)
	v_mul_f64 v[34:35], v[28:29], v[26:27]
	v_fma_f64 v[9:10], -v[9:10], v[30:31], v[32:33]
	s_delay_alu instid0(VALU_DEP_2) | instskip(NEXT) | instid1(VALU_DEP_2)
	v_fma_f64 v[22:23], -v[22:23], v[34:35], v[28:29]
	v_div_fmas_f64 v[9:10], v[9:10], v[24:25], v[30:31]
	s_mov_b32 vcc_lo, s4
	s_and_not1_b32 s4, s35, exec_lo
	s_delay_alu instid0(VALU_DEP_2) | instskip(SKIP_1) | instid1(VALU_DEP_1)
	v_div_fmas_f64 v[22:23], v[22:23], v[26:27], v[34:35]
	s_or_b32 s35, s4, s5
	v_div_fixup_f64 v[22:23], v[22:23], v[3:4], v[5:6]
	s_delay_alu instid0(VALU_DEP_3)
	v_div_fixup_f64 v[5:6], v[9:10], v[7:8], 1.0
	v_mov_b32_e32 v7, s23
	ds_store_b64 v7, v[22:23]
.LBB22_23:                              ;   in Loop: Header=BB22_9 Depth=1
	s_or_b32 exec_lo, exec_lo, s37
	s_and_saveexec_b32 s4, s35
	s_cbranch_execz .LBB22_25
; %bb.24:                               ;   in Loop: Header=BB22_9 Depth=1
	s_lshl_b64 s[38:39], s[8:9], 3
	s_delay_alu instid0(SALU_CYCLE_1)
	s_add_u32 s38, s19, s38
	s_addc_u32 s39, s20, s39
	s_or_b32 s36, s36, exec_lo
	s_waitcnt lgkmcnt(0)
	global_store_b64 v2, v[3:4], s[38:39]
	v_mov_b32_e32 v3, 0
	v_mov_b32_e32 v4, 0x3ff00000
.LBB22_25:                              ;   in Loop: Header=BB22_9 Depth=1
	s_or_b32 exec_lo, exec_lo, s4
	v_dual_mov_b32 v7, s10 :: v_dual_mov_b32 v8, s11
	v_dual_mov_b32 v10, s7 :: v_dual_mov_b32 v9, s6
	s_and_saveexec_b32 s4, s36
	s_cbranch_execz .LBB22_27
; %bb.26:                               ;   in Loop: Header=BB22_9 Depth=1
	v_dual_mov_b32 v7, s31 :: v_dual_mov_b32 v8, s23
	v_dual_mov_b32 v10, v6 :: v_dual_mov_b32 v9, v5
	s_waitcnt lgkmcnt(0)
	ds_store_b64 v7, v[3:4]
	ds_load_b64 v[7:8], v8
.LBB22_27:                              ;   in Loop: Header=BB22_9 Depth=1
	s_or_b32 exec_lo, exec_lo, s4
	s_lshl_b64 s[4:5], s[8:9], 3
	s_waitcnt lgkmcnt(0)
	v_mov_b32_e32 v3, s23
	s_add_u32 s4, s15, s4
	s_addc_u32 s5, s21, s5
	global_store_b64 v2, v[7:8], s[4:5]
	ds_store_b64 v3, v[9:10] offset:8
.LBB22_28:                              ;   in Loop: Header=BB22_9 Depth=1
	s_or_b32 exec_lo, exec_lo, s34
	s_waitcnt lgkmcnt(0)
	s_waitcnt_vscnt null, 0x0
	s_barrier
	buffer_gl0_inv
	s_and_saveexec_b32 s4, s3
	s_cbranch_execz .LBB22_31
; %bb.29:                               ;   in Loop: Header=BB22_9 Depth=1
	v_mov_b32_e32 v3, v0
	s_mov_b32 s3, 0
	s_mov_b32 s5, 0
	.p2align	6
.LBB22_30:                              ;   Parent Loop BB22_9 Depth=1
                                        ; =>  This Inner Loop Header: Depth=2
	s_delay_alu instid0(VALU_DEP_1)
	v_dual_mov_b32 v4, s23 :: v_dual_add_nc_u32 v3, 0x100, v3
	v_add_nc_u32_e32 v8, s5, v18
	s_addk_i32 s5, 0x800
	ds_load_b64 v[4:5], v4 offset:8
	ds_load_b64 v[6:7], v8
	v_cmp_le_i32_e32 vcc_lo, s33, v3
	s_or_b32 s3, vcc_lo, s3
	s_waitcnt lgkmcnt(0)
	v_mul_f64 v[4:5], v[4:5], v[6:7]
	ds_store_b64 v8, v[4:5]
	s_and_not1_b32 exec_lo, exec_lo, s3
	s_cbranch_execnz .LBB22_30
.LBB22_31:                              ;   in Loop: Header=BB22_9 Depth=1
	s_or_b32 exec_lo, exec_lo, s4
	s_not_b32 s3, s8
	s_mov_b32 s4, exec_lo
	s_add_i32 s3, s3, s13
	s_waitcnt lgkmcnt(0)
	s_barrier
	buffer_gl0_inv
	v_cmpx_gt_i32_e64 s3, v0
	s_cbranch_execz .LBB22_37
; %bb.32:                               ;   in Loop: Header=BB22_9 Depth=1
	v_dual_mov_b32 v5, v19 :: v_dual_mov_b32 v6, v0
	s_cmp_gt_i32 s30, 0
	s_mov_b32 s5, 0
	s_cselect_b32 s6, -1, 0
	s_set_inst_prefetch_distance 0x1
	s_branch .LBB22_34
	.p2align	6
.LBB22_33:                              ;   in Loop: Header=BB22_34 Depth=2
	v_mov_b32_e32 v7, s23
	v_add_nc_u32_e32 v5, s28, v5
	ds_load_b64 v[7:8], v7
	s_waitcnt lgkmcnt(0)
	v_mul_f64 v[3:4], v[3:4], v[7:8]
	v_lshl_add_u32 v7, v6, 3, s22
	v_add_nc_u32_e32 v6, 0x100, v6
	s_delay_alu instid0(VALU_DEP_1)
	v_cmp_le_i32_e32 vcc_lo, s3, v6
	s_or_b32 s5, vcc_lo, s5
	ds_store_b64 v7, v[3:4]
	s_and_not1_b32 exec_lo, exec_lo, s5
	s_cbranch_execz .LBB22_37
.LBB22_34:                              ;   Parent Loop BB22_9 Depth=1
                                        ; =>  This Loop Header: Depth=2
                                        ;       Child Loop BB22_36 Depth 3
	v_mov_b32_e32 v3, 0
	v_mov_b32_e32 v4, 0
	s_and_not1_b32 vcc_lo, exec_lo, s6
	s_cbranch_vccnz .LBB22_33
; %bb.35:                               ;   in Loop: Header=BB22_34 Depth=2
	v_mov_b32_e32 v7, v5
	s_mov_b32 s7, 0
	s_mov_b32 s10, s29
.LBB22_36:                              ;   Parent Loop BB22_9 Depth=1
                                        ;     Parent Loop BB22_34 Depth=2
                                        ; =>    This Inner Loop Header: Depth=3
	s_delay_alu instid0(SALU_CYCLE_1)
	v_mov_b32_e32 v10, s10
	s_add_i32 s7, s7, 1
	s_add_i32 s10, s10, 8
	s_cmp_ge_i32 s7, s30
	ds_load_b64 v[8:9], v7
	ds_load_b64 v[22:23], v10
	v_add_nc_u32_e32 v7, 8, v7
	s_waitcnt lgkmcnt(0)
	v_fma_f64 v[3:4], v[8:9], v[22:23], v[3:4]
	s_cbranch_scc0 .LBB22_36
	s_branch .LBB22_33
.LBB22_37:                              ;   in Loop: Header=BB22_9 Depth=1
	s_set_inst_prefetch_distance 0x2
	s_or_b32 exec_lo, exec_lo, s4
	s_delay_alu instid0(SALU_CYCLE_1)
	s_mov_b32 s4, exec_lo
	s_waitcnt lgkmcnt(0)
	s_barrier
	buffer_gl0_inv
	v_cmpx_gt_i32_e64 s30, v0
	s_cbranch_execz .LBB22_8
; %bb.38:                               ;   in Loop: Header=BB22_9 Depth=1
	v_mov_b32_e32 v3, v20
	v_mov_b32_e32 v4, v0
	s_cmp_gt_i32 s3, 0
	s_mov_b32 s5, 0
	s_cselect_b32 s6, -1, 0
	s_set_inst_prefetch_distance 0x1
	s_branch .LBB22_40
	.p2align	6
.LBB22_39:                              ;   in Loop: Header=BB22_40 Depth=2
	v_add_nc_u32_e32 v4, 0x100, v4
	v_add_nc_u32_e32 v3, 0x800, v3
	s_delay_alu instid0(VALU_DEP_2) | instskip(SKIP_1) | instid1(SALU_CYCLE_1)
	v_cmp_le_i32_e32 vcc_lo, s30, v4
	s_or_b32 s5, vcc_lo, s5
	s_and_not1_b32 exec_lo, exec_lo, s5
	s_cbranch_execz .LBB22_8
.LBB22_40:                              ;   Parent Loop BB22_9 Depth=1
                                        ; =>  This Loop Header: Depth=2
                                        ;       Child Loop BB22_42 Depth 3
	s_and_not1_b32 vcc_lo, exec_lo, s6
	s_cbranch_vccnz .LBB22_39
; %bb.41:                               ;   in Loop: Header=BB22_40 Depth=2
	v_lshl_add_u32 v5, v4, 3, s31
	v_mov_b32_e32 v6, v3
	s_mov_b32 s7, 0
	s_mov_b32 s10, s22
	.p2align	6
.LBB22_42:                              ;   Parent Loop BB22_9 Depth=1
                                        ;     Parent Loop BB22_40 Depth=2
                                        ; =>    This Inner Loop Header: Depth=3
	s_delay_alu instid0(SALU_CYCLE_1)
	v_mov_b32_e32 v22, s10
	s_add_i32 s7, s7, 1
	s_add_i32 s10, s10, 8
	ds_load_b64 v[7:8], v6
	ds_load_b64 v[9:10], v5
	;; [unrolled: 1-line block ×3, first 2 shown]
	s_cmp_ge_i32 s7, s3
	s_waitcnt lgkmcnt(0)
	v_fma_f64 v[7:8], -v[9:10], v[22:23], v[7:8]
	ds_store_b64 v6, v[7:8]
	v_add_nc_u32_e32 v6, s26, v6
	s_cbranch_scc0 .LBB22_42
	s_branch .LBB22_39
.LBB22_43:
	s_and_saveexec_b32 s1, s0
	s_cbranch_execz .LBB22_49
; %bb.44:
	v_mul_lo_u32 v0, s12, v11
	v_mad_u64_u32 v[2:3], null, s17, v11, v[1:2]
	v_cmp_gt_i32_e32 vcc_lo, s13, v11
	s_lshl_b32 s2, s17, 1
	s_mov_b32 s3, 0
	s_lshl_b32 s4, s12, 4
	s_delay_alu instid0(VALU_DEP_3) | instskip(NEXT) | instid1(VALU_DEP_1)
	v_lshlrev_b32_e32 v0, 3, v0
	v_add3_u32 v0, v0, v12, 0
	s_set_inst_prefetch_distance 0x1
	s_branch .LBB22_46
	.p2align	6
.LBB22_45:                              ;   in Loop: Header=BB22_46 Depth=1
	s_or_b32 exec_lo, exec_lo, s5
	v_add_nc_u32_e32 v1, 0x80, v1
	v_add_nc_u32_e32 v2, 0x80, v2
	;; [unrolled: 1-line block ×3, first 2 shown]
	s_delay_alu instid0(VALU_DEP_3) | instskip(NEXT) | instid1(VALU_DEP_1)
	v_cmp_le_i32_e64 s0, s12, v1
	s_or_b32 s3, s0, s3
	s_delay_alu instid0(SALU_CYCLE_1)
	s_and_not1_b32 exec_lo, exec_lo, s3
	s_cbranch_execz .LBB22_49
.LBB22_46:                              ; =>This Loop Header: Depth=1
                                        ;     Child Loop BB22_48 Depth 2
	s_and_saveexec_b32 s5, vcc_lo
	s_cbranch_execz .LBB22_45
; %bb.47:                               ;   in Loop: Header=BB22_46 Depth=1
	v_dual_mov_b32 v5, v0 :: v_dual_mov_b32 v6, v11
	v_mov_b32_e32 v3, v2
	s_mov_b32 s6, 0
	.p2align	6
.LBB22_48:                              ;   Parent Loop BB22_46 Depth=1
                                        ; =>  This Inner Loop Header: Depth=2
	ds_load_b64 v[7:8], v5
	v_ashrrev_i32_e32 v4, 31, v3
	v_add_nc_u32_e32 v6, 2, v6
	v_add_nc_u32_e32 v5, s4, v5
	s_delay_alu instid0(VALU_DEP_3) | instskip(NEXT) | instid1(VALU_DEP_3)
	v_lshlrev_b64 v[9:10], 3, v[3:4]
	v_cmp_le_i32_e64 s0, s13, v6
	v_add_nc_u32_e32 v3, s2, v3
	s_delay_alu instid0(VALU_DEP_2) | instskip(NEXT) | instid1(VALU_DEP_3)
	s_or_b32 s6, s0, s6
	v_add_co_u32 v9, s1, s14, v9
	s_delay_alu instid0(VALU_DEP_1)
	v_add_co_ci_u32_e64 v10, s1, s16, v10, s1
	s_waitcnt lgkmcnt(0)
	global_store_b64 v[9:10], v[7:8], off
	s_and_not1_b32 exec_lo, exec_lo, s6
	s_cbranch_execnz .LBB22_48
	s_branch .LBB22_45
.LBB22_49:
	s_set_inst_prefetch_distance 0x2
	s_nop 0
	s_sendmsg sendmsg(MSG_DEALLOC_VGPRS)
	s_endpgm
	.section	.rodata,"a",@progbits
	.p2align	6, 0x0
	.amdhsa_kernel _ZN9rocsolver6v33100L18geqr2_kernel_smallILi256EdidPdEEvT1_S3_T3_lS3_lPT2_lPT0_l
		.amdhsa_group_segment_fixed_size 0
		.amdhsa_private_segment_fixed_size 0
		.amdhsa_kernarg_size 72
		.amdhsa_user_sgpr_count 14
		.amdhsa_user_sgpr_dispatch_ptr 0
		.amdhsa_user_sgpr_queue_ptr 0
		.amdhsa_user_sgpr_kernarg_segment_ptr 1
		.amdhsa_user_sgpr_dispatch_id 0
		.amdhsa_user_sgpr_private_segment_size 0
		.amdhsa_wavefront_size32 1
		.amdhsa_uses_dynamic_stack 0
		.amdhsa_enable_private_segment 0
		.amdhsa_system_sgpr_workgroup_id_x 1
		.amdhsa_system_sgpr_workgroup_id_y 0
		.amdhsa_system_sgpr_workgroup_id_z 1
		.amdhsa_system_sgpr_workgroup_info 0
		.amdhsa_system_vgpr_workitem_id 0
		.amdhsa_next_free_vgpr 36
		.amdhsa_next_free_sgpr 40
		.amdhsa_reserve_vcc 1
		.amdhsa_float_round_mode_32 0
		.amdhsa_float_round_mode_16_64 0
		.amdhsa_float_denorm_mode_32 3
		.amdhsa_float_denorm_mode_16_64 3
		.amdhsa_dx10_clamp 1
		.amdhsa_ieee_mode 1
		.amdhsa_fp16_overflow 0
		.amdhsa_workgroup_processor_mode 1
		.amdhsa_memory_ordered 1
		.amdhsa_forward_progress 0
		.amdhsa_shared_vgpr_count 0
		.amdhsa_exception_fp_ieee_invalid_op 0
		.amdhsa_exception_fp_denorm_src 0
		.amdhsa_exception_fp_ieee_div_zero 0
		.amdhsa_exception_fp_ieee_overflow 0
		.amdhsa_exception_fp_ieee_underflow 0
		.amdhsa_exception_fp_ieee_inexact 0
		.amdhsa_exception_int_div_zero 0
	.end_amdhsa_kernel
	.section	.text._ZN9rocsolver6v33100L18geqr2_kernel_smallILi256EdidPdEEvT1_S3_T3_lS3_lPT2_lPT0_l,"axG",@progbits,_ZN9rocsolver6v33100L18geqr2_kernel_smallILi256EdidPdEEvT1_S3_T3_lS3_lPT2_lPT0_l,comdat
.Lfunc_end22:
	.size	_ZN9rocsolver6v33100L18geqr2_kernel_smallILi256EdidPdEEvT1_S3_T3_lS3_lPT2_lPT0_l, .Lfunc_end22-_ZN9rocsolver6v33100L18geqr2_kernel_smallILi256EdidPdEEvT1_S3_T3_lS3_lPT2_lPT0_l
                                        ; -- End function
	.section	.AMDGPU.csdata,"",@progbits
; Kernel info:
; codeLenInByte = 2812
; NumSgprs: 42
; NumVgprs: 36
; ScratchSize: 0
; MemoryBound: 0
; FloatMode: 240
; IeeeMode: 1
; LDSByteSize: 0 bytes/workgroup (compile time only)
; SGPRBlocks: 5
; VGPRBlocks: 4
; NumSGPRsForWavesPerEU: 42
; NumVGPRsForWavesPerEU: 36
; Occupancy: 16
; WaveLimiterHint : 0
; COMPUTE_PGM_RSRC2:SCRATCH_EN: 0
; COMPUTE_PGM_RSRC2:USER_SGPR: 14
; COMPUTE_PGM_RSRC2:TRAP_HANDLER: 0
; COMPUTE_PGM_RSRC2:TGID_X_EN: 1
; COMPUTE_PGM_RSRC2:TGID_Y_EN: 0
; COMPUTE_PGM_RSRC2:TGID_Z_EN: 1
; COMPUTE_PGM_RSRC2:TIDIG_COMP_CNT: 0
	.section	.text._ZN9rocsolver6v33100L16reset_batch_infoIdiiPdEEvT2_lT0_T1_,"axG",@progbits,_ZN9rocsolver6v33100L16reset_batch_infoIdiiPdEEvT2_lT0_T1_,comdat
	.globl	_ZN9rocsolver6v33100L16reset_batch_infoIdiiPdEEvT2_lT0_T1_ ; -- Begin function _ZN9rocsolver6v33100L16reset_batch_infoIdiiPdEEvT2_lT0_T1_
	.p2align	8
	.type	_ZN9rocsolver6v33100L16reset_batch_infoIdiiPdEEvT2_lT0_T1_,@function
_ZN9rocsolver6v33100L16reset_batch_infoIdiiPdEEvT2_lT0_T1_: ; @_ZN9rocsolver6v33100L16reset_batch_infoIdiiPdEEvT2_lT0_T1_
; %bb.0:
	s_clause 0x1
	s_load_b32 s4, s[0:1], 0x24
	s_load_b64 s[2:3], s[0:1], 0x10
	s_waitcnt lgkmcnt(0)
	s_and_b32 s4, s4, 0xffff
	s_delay_alu instid0(SALU_CYCLE_1) | instskip(NEXT) | instid1(VALU_DEP_1)
	v_mad_u64_u32 v[1:2], null, s14, s4, v[0:1]
	v_cmp_gt_i32_e32 vcc_lo, s2, v1
	s_and_saveexec_b32 s2, vcc_lo
	s_cbranch_execz .LBB23_2
; %bb.1:
	v_cvt_f64_i32_e32 v[3:4], s3
	s_load_b128 s[4:7], s[0:1], 0x0
	v_ashrrev_i32_e32 v2, 31, v1
	s_ashr_i32 s0, s15, 31
	s_delay_alu instid0(VALU_DEP_1)
	v_lshlrev_b64 v[0:1], 3, v[1:2]
	s_waitcnt lgkmcnt(0)
	s_mul_i32 s1, s15, s7
	s_mul_hi_u32 s2, s15, s6
	s_mul_i32 s0, s0, s6
	s_add_i32 s1, s2, s1
	s_delay_alu instid0(SALU_CYCLE_1) | instskip(SKIP_1) | instid1(SALU_CYCLE_1)
	s_add_i32 s1, s1, s0
	s_mul_i32 s0, s15, s6
	s_lshl_b64 s[0:1], s[0:1], 3
	s_delay_alu instid0(SALU_CYCLE_1)
	s_add_u32 s0, s4, s0
	s_addc_u32 s1, s5, s1
	v_add_co_u32 v0, vcc_lo, s0, v0
	v_add_co_ci_u32_e32 v1, vcc_lo, s1, v1, vcc_lo
	global_store_b64 v[0:1], v[3:4], off
.LBB23_2:
	s_nop 0
	s_sendmsg sendmsg(MSG_DEALLOC_VGPRS)
	s_endpgm
	.section	.rodata,"a",@progbits
	.p2align	6, 0x0
	.amdhsa_kernel _ZN9rocsolver6v33100L16reset_batch_infoIdiiPdEEvT2_lT0_T1_
		.amdhsa_group_segment_fixed_size 0
		.amdhsa_private_segment_fixed_size 0
		.amdhsa_kernarg_size 280
		.amdhsa_user_sgpr_count 14
		.amdhsa_user_sgpr_dispatch_ptr 0
		.amdhsa_user_sgpr_queue_ptr 0
		.amdhsa_user_sgpr_kernarg_segment_ptr 1
		.amdhsa_user_sgpr_dispatch_id 0
		.amdhsa_user_sgpr_private_segment_size 0
		.amdhsa_wavefront_size32 1
		.amdhsa_uses_dynamic_stack 0
		.amdhsa_enable_private_segment 0
		.amdhsa_system_sgpr_workgroup_id_x 1
		.amdhsa_system_sgpr_workgroup_id_y 1
		.amdhsa_system_sgpr_workgroup_id_z 0
		.amdhsa_system_sgpr_workgroup_info 0
		.amdhsa_system_vgpr_workitem_id 0
		.amdhsa_next_free_vgpr 5
		.amdhsa_next_free_sgpr 16
		.amdhsa_reserve_vcc 1
		.amdhsa_float_round_mode_32 0
		.amdhsa_float_round_mode_16_64 0
		.amdhsa_float_denorm_mode_32 3
		.amdhsa_float_denorm_mode_16_64 3
		.amdhsa_dx10_clamp 1
		.amdhsa_ieee_mode 1
		.amdhsa_fp16_overflow 0
		.amdhsa_workgroup_processor_mode 1
		.amdhsa_memory_ordered 1
		.amdhsa_forward_progress 0
		.amdhsa_shared_vgpr_count 0
		.amdhsa_exception_fp_ieee_invalid_op 0
		.amdhsa_exception_fp_denorm_src 0
		.amdhsa_exception_fp_ieee_div_zero 0
		.amdhsa_exception_fp_ieee_overflow 0
		.amdhsa_exception_fp_ieee_underflow 0
		.amdhsa_exception_fp_ieee_inexact 0
		.amdhsa_exception_int_div_zero 0
	.end_amdhsa_kernel
	.section	.text._ZN9rocsolver6v33100L16reset_batch_infoIdiiPdEEvT2_lT0_T1_,"axG",@progbits,_ZN9rocsolver6v33100L16reset_batch_infoIdiiPdEEvT2_lT0_T1_,comdat
.Lfunc_end23:
	.size	_ZN9rocsolver6v33100L16reset_batch_infoIdiiPdEEvT2_lT0_T1_, .Lfunc_end23-_ZN9rocsolver6v33100L16reset_batch_infoIdiiPdEEvT2_lT0_T1_
                                        ; -- End function
	.section	.AMDGPU.csdata,"",@progbits
; Kernel info:
; codeLenInByte = 168
; NumSgprs: 18
; NumVgprs: 5
; ScratchSize: 0
; MemoryBound: 0
; FloatMode: 240
; IeeeMode: 1
; LDSByteSize: 0 bytes/workgroup (compile time only)
; SGPRBlocks: 2
; VGPRBlocks: 0
; NumSGPRsForWavesPerEU: 18
; NumVGPRsForWavesPerEU: 5
; Occupancy: 16
; WaveLimiterHint : 0
; COMPUTE_PGM_RSRC2:SCRATCH_EN: 0
; COMPUTE_PGM_RSRC2:USER_SGPR: 14
; COMPUTE_PGM_RSRC2:TRAP_HANDLER: 0
; COMPUTE_PGM_RSRC2:TGID_X_EN: 1
; COMPUTE_PGM_RSRC2:TGID_Y_EN: 1
; COMPUTE_PGM_RSRC2:TGID_Z_EN: 0
; COMPUTE_PGM_RSRC2:TIDIG_COMP_CNT: 0
	.section	.text._ZN9rocsolver6v33100L8set_diagIdidPdTnNSt9enable_ifIXoont18rocblas_is_complexIT_E18rocblas_is_complexIT1_EEiE4typeELi0EEEvPS5_llT2_lT0_lSA_b,"axG",@progbits,_ZN9rocsolver6v33100L8set_diagIdidPdTnNSt9enable_ifIXoont18rocblas_is_complexIT_E18rocblas_is_complexIT1_EEiE4typeELi0EEEvPS5_llT2_lT0_lSA_b,comdat
	.globl	_ZN9rocsolver6v33100L8set_diagIdidPdTnNSt9enable_ifIXoont18rocblas_is_complexIT_E18rocblas_is_complexIT1_EEiE4typeELi0EEEvPS5_llT2_lT0_lSA_b ; -- Begin function _ZN9rocsolver6v33100L8set_diagIdidPdTnNSt9enable_ifIXoont18rocblas_is_complexIT_E18rocblas_is_complexIT1_EEiE4typeELi0EEEvPS5_llT2_lT0_lSA_b
	.p2align	8
	.type	_ZN9rocsolver6v33100L8set_diagIdidPdTnNSt9enable_ifIXoont18rocblas_is_complexIT_E18rocblas_is_complexIT1_EEiE4typeELi0EEEvPS5_llT2_lT0_lSA_b,@function
_ZN9rocsolver6v33100L8set_diagIdidPdTnNSt9enable_ifIXoont18rocblas_is_complexIT_E18rocblas_is_complexIT1_EEiE4typeELi0EEEvPS5_llT2_lT0_lSA_b: ; @_ZN9rocsolver6v33100L8set_diagIdidPdTnNSt9enable_ifIXoont18rocblas_is_complexIT_E18rocblas_is_complexIT1_EEiE4typeELi0EEEvPS5_llT2_lT0_lSA_b
; %bb.0:
	s_clause 0x1
	s_load_b32 s4, s[0:1], 0x4c
	s_load_b64 s[2:3], s[0:1], 0x38
	v_bfe_u32 v2, v0, 10, 10
	s_waitcnt lgkmcnt(0)
	s_lshr_b32 s4, s4, 16
	s_delay_alu instid0(VALU_DEP_1) | instid1(SALU_CYCLE_1)
	v_mad_u64_u32 v[0:1], null, s15, s4, v[2:3]
	s_delay_alu instid0(VALU_DEP_1)
	v_cmp_gt_i32_e32 vcc_lo, s2, v0
	s_and_saveexec_b32 s2, vcc_lo
	s_cbranch_execz .LBB24_2
; %bb.1:
	s_clause 0x3
	s_load_b32 s2, s[0:1], 0x28
	s_load_b64 s[12:13], s[0:1], 0x30
	s_load_b256 s[4:11], s[0:1], 0x0
	s_load_b64 s[0:1], s[0:1], 0x20
	s_bitcmp1_b32 s3, 0
	s_cselect_b32 s15, -1, 0
	s_ashr_i32 s16, s14, 31
	s_waitcnt lgkmcnt(0)
	v_mad_u64_u32 v[1:2], null, v0, s2, v[0:1]
	s_mul_i32 s2, s14, s13
	s_mul_hi_u32 s3, s14, s12
	s_mul_i32 s13, s16, s12
	s_add_i32 s3, s3, s2
	s_mul_i32 s2, s14, s12
	s_add_i32 s3, s3, s13
	s_delay_alu instid0(VALU_DEP_1)
	v_ashrrev_i32_e32 v2, 31, v1
	s_lshl_b64 s[2:3], s[2:3], 3
	s_mul_i32 s16, s16, s8
	s_add_u32 s2, s10, s2
	s_addc_u32 s3, s11, s3
	v_lshlrev_b64 v[1:2], 3, v[1:2]
	s_lshl_b64 s[0:1], s[0:1], 3
	s_delay_alu instid0(SALU_CYCLE_1) | instskip(SKIP_1) | instid1(VALU_DEP_1)
	s_add_u32 s0, s2, s0
	s_addc_u32 s1, s3, s1
	v_add_co_u32 v3, vcc_lo, s0, v1
	s_delay_alu instid0(VALU_DEP_2)
	v_add_co_ci_u32_e32 v4, vcc_lo, s1, v2, vcc_lo
	s_mul_i32 s0, s14, s9
	s_mul_hi_u32 s1, s14, s8
	v_ashrrev_i32_e32 v1, 31, v0
	global_load_b64 v[5:6], v[3:4], off
	s_add_i32 s1, s1, s0
	s_mul_i32 s0, s14, s8
	s_add_i32 s1, s1, s16
	v_lshlrev_b64 v[0:1], 3, v[0:1]
	s_lshl_b64 s[0:1], s[0:1], 3
	s_delay_alu instid0(SALU_CYCLE_1) | instskip(SKIP_2) | instid1(SALU_CYCLE_1)
	s_add_u32 s2, s4, s0
	s_addc_u32 s3, s5, s1
	s_lshl_b64 s[0:1], s[6:7], 3
	s_add_u32 s0, s2, s0
	s_addc_u32 s1, s3, s1
	v_add_co_u32 v0, vcc_lo, s0, v0
	v_add_co_ci_u32_e32 v1, vcc_lo, s1, v1, vcc_lo
	s_waitcnt vmcnt(0)
	v_cndmask_b32_e64 v8, v6, 0x3ff00000, s15
	v_cndmask_b32_e64 v7, v5, 0, s15
	global_store_b64 v[0:1], v[5:6], off
	global_store_b64 v[3:4], v[7:8], off
.LBB24_2:
	s_nop 0
	s_sendmsg sendmsg(MSG_DEALLOC_VGPRS)
	s_endpgm
	.section	.rodata,"a",@progbits
	.p2align	6, 0x0
	.amdhsa_kernel _ZN9rocsolver6v33100L8set_diagIdidPdTnNSt9enable_ifIXoont18rocblas_is_complexIT_E18rocblas_is_complexIT1_EEiE4typeELi0EEEvPS5_llT2_lT0_lSA_b
		.amdhsa_group_segment_fixed_size 0
		.amdhsa_private_segment_fixed_size 0
		.amdhsa_kernarg_size 320
		.amdhsa_user_sgpr_count 14
		.amdhsa_user_sgpr_dispatch_ptr 0
		.amdhsa_user_sgpr_queue_ptr 0
		.amdhsa_user_sgpr_kernarg_segment_ptr 1
		.amdhsa_user_sgpr_dispatch_id 0
		.amdhsa_user_sgpr_private_segment_size 0
		.amdhsa_wavefront_size32 1
		.amdhsa_uses_dynamic_stack 0
		.amdhsa_enable_private_segment 0
		.amdhsa_system_sgpr_workgroup_id_x 1
		.amdhsa_system_sgpr_workgroup_id_y 1
		.amdhsa_system_sgpr_workgroup_id_z 0
		.amdhsa_system_sgpr_workgroup_info 0
		.amdhsa_system_vgpr_workitem_id 1
		.amdhsa_next_free_vgpr 9
		.amdhsa_next_free_sgpr 17
		.amdhsa_reserve_vcc 1
		.amdhsa_float_round_mode_32 0
		.amdhsa_float_round_mode_16_64 0
		.amdhsa_float_denorm_mode_32 3
		.amdhsa_float_denorm_mode_16_64 3
		.amdhsa_dx10_clamp 1
		.amdhsa_ieee_mode 1
		.amdhsa_fp16_overflow 0
		.amdhsa_workgroup_processor_mode 1
		.amdhsa_memory_ordered 1
		.amdhsa_forward_progress 0
		.amdhsa_shared_vgpr_count 0
		.amdhsa_exception_fp_ieee_invalid_op 0
		.amdhsa_exception_fp_denorm_src 0
		.amdhsa_exception_fp_ieee_div_zero 0
		.amdhsa_exception_fp_ieee_overflow 0
		.amdhsa_exception_fp_ieee_underflow 0
		.amdhsa_exception_fp_ieee_inexact 0
		.amdhsa_exception_int_div_zero 0
	.end_amdhsa_kernel
	.section	.text._ZN9rocsolver6v33100L8set_diagIdidPdTnNSt9enable_ifIXoont18rocblas_is_complexIT_E18rocblas_is_complexIT1_EEiE4typeELi0EEEvPS5_llT2_lT0_lSA_b,"axG",@progbits,_ZN9rocsolver6v33100L8set_diagIdidPdTnNSt9enable_ifIXoont18rocblas_is_complexIT_E18rocblas_is_complexIT1_EEiE4typeELi0EEEvPS5_llT2_lT0_lSA_b,comdat
.Lfunc_end24:
	.size	_ZN9rocsolver6v33100L8set_diagIdidPdTnNSt9enable_ifIXoont18rocblas_is_complexIT_E18rocblas_is_complexIT1_EEiE4typeELi0EEEvPS5_llT2_lT0_lSA_b, .Lfunc_end24-_ZN9rocsolver6v33100L8set_diagIdidPdTnNSt9enable_ifIXoont18rocblas_is_complexIT_E18rocblas_is_complexIT1_EEiE4typeELi0EEEvPS5_llT2_lT0_lSA_b
                                        ; -- End function
	.section	.AMDGPU.csdata,"",@progbits
; Kernel info:
; codeLenInByte = 344
; NumSgprs: 19
; NumVgprs: 9
; ScratchSize: 0
; MemoryBound: 0
; FloatMode: 240
; IeeeMode: 1
; LDSByteSize: 0 bytes/workgroup (compile time only)
; SGPRBlocks: 2
; VGPRBlocks: 1
; NumSGPRsForWavesPerEU: 19
; NumVGPRsForWavesPerEU: 9
; Occupancy: 16
; WaveLimiterHint : 0
; COMPUTE_PGM_RSRC2:SCRATCH_EN: 0
; COMPUTE_PGM_RSRC2:USER_SGPR: 14
; COMPUTE_PGM_RSRC2:TRAP_HANDLER: 0
; COMPUTE_PGM_RSRC2:TGID_X_EN: 1
; COMPUTE_PGM_RSRC2:TGID_Y_EN: 1
; COMPUTE_PGM_RSRC2:TGID_Z_EN: 0
; COMPUTE_PGM_RSRC2:TIDIG_COMP_CNT: 1
	.section	.text._ZN9rocsolver6v33100L11set_taubetaIdidPdEEvPT_lS4_T2_llPT1_ll,"axG",@progbits,_ZN9rocsolver6v33100L11set_taubetaIdidPdEEvPT_lS4_T2_llPT1_ll,comdat
	.globl	_ZN9rocsolver6v33100L11set_taubetaIdidPdEEvPT_lS4_T2_llPT1_ll ; -- Begin function _ZN9rocsolver6v33100L11set_taubetaIdidPdEEvPT_lS4_T2_llPT1_ll
	.p2align	8
	.type	_ZN9rocsolver6v33100L11set_taubetaIdidPdEEvPT_lS4_T2_llPT1_ll,@function
_ZN9rocsolver6v33100L11set_taubetaIdidPdEEvPT_lS4_T2_llPT1_ll: ; @_ZN9rocsolver6v33100L11set_taubetaIdidPdEEvPT_lS4_T2_llPT1_ll
; %bb.0:
	s_mov_b32 s20, s15
	s_load_b512 s[4:19], s[0:1], 0x0
	s_ashr_i32 s21, s20, 31
	s_mov_b64 s[2:3], 0
	s_waitcnt lgkmcnt(0)
	s_cmp_eq_u64 s[16:17], 0
	s_cbranch_scc1 .LBB25_2
; %bb.1:
	s_load_b64 s[0:1], s[0:1], 0x40
	s_waitcnt lgkmcnt(0)
	s_mul_i32 s1, s20, s1
	s_mul_hi_u32 s2, s20, s0
	s_mul_i32 s3, s21, s0
	s_add_i32 s1, s2, s1
	s_mul_i32 s0, s20, s0
	s_add_i32 s1, s1, s3
	s_delay_alu instid0(SALU_CYCLE_1) | instskip(NEXT) | instid1(SALU_CYCLE_1)
	s_lshl_b64 s[0:1], s[0:1], 3
	s_add_u32 s2, s16, s0
	s_addc_u32 s3, s17, s1
	s_lshl_b64 s[0:1], s[18:19], 3
	s_delay_alu instid0(SALU_CYCLE_1)
	s_add_u32 s2, s2, s0
	s_addc_u32 s3, s3, s1
.LBB25_2:
	s_mul_i32 s0, s20, s15
	s_mul_hi_u32 s1, s20, s14
	s_mul_i32 s15, s21, s14
	s_add_i32 s1, s1, s0
	s_mul_i32 s0, s20, s14
	s_add_i32 s1, s1, s15
	s_mul_i32 s7, s20, s7
	s_lshl_b64 s[0:1], s[0:1], 3
	s_delay_alu instid0(SALU_CYCLE_1) | instskip(SKIP_2) | instid1(SALU_CYCLE_1)
	s_add_u32 s10, s10, s0
	s_addc_u32 s11, s11, s1
	s_lshl_b64 s[0:1], s[12:13], 3
	s_add_u32 s0, s10, s0
	s_mul_hi_u32 s10, s20, s6
	s_addc_u32 s1, s11, s1
	s_add_i32 s7, s10, s7
	s_mul_i32 s10, s21, s6
	s_mul_i32 s6, s20, s6
	s_add_i32 s7, s7, s10
	s_delay_alu instid0(SALU_CYCLE_1) | instskip(NEXT) | instid1(SALU_CYCLE_1)
	s_lshl_b64 s[6:7], s[6:7], 3
	s_add_u32 s4, s4, s6
	s_addc_u32 s5, s5, s7
	s_lshl_b64 s[6:7], s[20:21], 3
	s_delay_alu instid0(SALU_CYCLE_1)
	s_add_u32 s6, s8, s6
	s_addc_u32 s7, s9, s7
	s_cmp_eq_u64 s[2:3], 0
	s_load_b64 s[8:9], s[6:7], 0x0
	s_cselect_b32 s10, -1, 0
	s_cmp_lg_u64 s[2:3], 0
	s_cselect_b32 s11, -1, 0
	s_waitcnt lgkmcnt(0)
	v_cmp_ngt_f64_e64 s12, s[8:9], 0
	s_delay_alu instid0(VALU_DEP_1)
	s_and_b32 vcc_lo, exec_lo, s12
	s_mov_b32 s12, 0
	s_cbranch_vccz .LBB25_5
; %bb.3:
	v_dual_mov_b32 v0, 0 :: v_dual_mov_b32 v1, 0x3ff00000
	s_mov_b32 s14, 0
	s_and_b32 vcc_lo, exec_lo, s11
	global_store_b64 v0, v[0:1], s[6:7]
	v_mov_b32_e32 v1, v0
	global_store_b64 v0, v[0:1], s[4:5]
	s_cbranch_vccz .LBB25_6
; %bb.4:
	global_load_b64 v[0:1], v0, s[0:1]
	s_mov_b32 s13, -1
	s_and_b32 vcc_lo, exec_lo, s14
	s_cbranch_vccnz .LBB25_7
	s_branch .LBB25_8
.LBB25_5:
	s_mov_b32 s14, -1
.LBB25_6:
	s_mov_b32 s13, 0
                                        ; implicit-def: $vgpr0_vgpr1
	s_and_b32 vcc_lo, exec_lo, s14
	s_cbranch_vccz .LBB25_8
.LBB25_7:
	s_load_b64 s[12:13], s[0:1], 0x0
	v_mov_b32_e32 v12, 0
	s_waitcnt vmcnt(0) lgkmcnt(0)
	v_fma_f64 v[0:1], s[12:13], s[12:13], s[8:9]
	s_delay_alu instid0(VALU_DEP_1) | instskip(SKIP_3) | instid1(VALU_DEP_1)
	v_cmp_gt_f64_e32 vcc_lo, 0x10000000, v[0:1]
	v_cndmask_b32_e64 v2, 0, 1, vcc_lo
	s_and_b32 s8, vcc_lo, exec_lo
	s_cselect_b32 s8, 0xffffff80, 0
	v_lshlrev_b32_e32 v2, 8, v2
	s_delay_alu instid0(VALU_DEP_1) | instskip(NEXT) | instid1(VALU_DEP_1)
	v_ldexp_f64 v[0:1], v[0:1], v2
	v_rsq_f64_e32 v[2:3], v[0:1]
	v_cmp_class_f64_e64 vcc_lo, v[0:1], 0x260
	s_waitcnt_depctr 0xfff
	v_mul_f64 v[4:5], v[0:1], v[2:3]
	v_mul_f64 v[2:3], v[2:3], 0.5
	s_delay_alu instid0(VALU_DEP_1) | instskip(NEXT) | instid1(VALU_DEP_1)
	v_fma_f64 v[6:7], -v[2:3], v[4:5], 0.5
	v_fma_f64 v[4:5], v[4:5], v[6:7], v[4:5]
	v_fma_f64 v[2:3], v[2:3], v[6:7], v[2:3]
	s_delay_alu instid0(VALU_DEP_2) | instskip(NEXT) | instid1(VALU_DEP_1)
	v_fma_f64 v[6:7], -v[4:5], v[4:5], v[0:1]
	v_fma_f64 v[4:5], v[6:7], v[2:3], v[4:5]
	s_delay_alu instid0(VALU_DEP_1) | instskip(NEXT) | instid1(VALU_DEP_1)
	v_fma_f64 v[6:7], -v[4:5], v[4:5], v[0:1]
	v_fma_f64 v[2:3], v[6:7], v[2:3], v[4:5]
	s_delay_alu instid0(VALU_DEP_1) | instskip(NEXT) | instid1(VALU_DEP_1)
	v_ldexp_f64 v[2:3], v[2:3], s8
	v_dual_cndmask_b32 v1, v3, v1 :: v_dual_cndmask_b32 v0, v2, v0
	v_cmp_ge_f64_e64 vcc_lo, s[12:13], 0
	s_delay_alu instid0(VALU_DEP_2) | instskip(NEXT) | instid1(VALU_DEP_1)
	v_xor_b32_e32 v2, 0x80000000, v1
	v_cndmask_b32_e32 v1, v1, v2, vcc_lo
	s_delay_alu instid0(VALU_DEP_1) | instskip(SKIP_2) | instid1(VALU_DEP_1)
	v_add_f64 v[2:3], s[12:13], -v[0:1]
	s_mov_b32 s12, s10
	s_mov_b32 s13, s11
	v_div_scale_f64 v[4:5], null, v[2:3], v[2:3], 1.0
	v_div_scale_f64 v[10:11], vcc_lo, 1.0, v[2:3], 1.0
	s_delay_alu instid0(VALU_DEP_2) | instskip(SKIP_2) | instid1(VALU_DEP_1)
	v_rcp_f64_e32 v[6:7], v[4:5]
	s_waitcnt_depctr 0xfff
	v_fma_f64 v[8:9], -v[4:5], v[6:7], 1.0
	v_fma_f64 v[6:7], v[6:7], v[8:9], v[6:7]
	s_delay_alu instid0(VALU_DEP_1) | instskip(NEXT) | instid1(VALU_DEP_1)
	v_fma_f64 v[8:9], -v[4:5], v[6:7], 1.0
	v_fma_f64 v[6:7], v[6:7], v[8:9], v[6:7]
	s_delay_alu instid0(VALU_DEP_1) | instskip(NEXT) | instid1(VALU_DEP_1)
	v_mul_f64 v[8:9], v[10:11], v[6:7]
	v_fma_f64 v[4:5], -v[4:5], v[8:9], v[10:11]
	s_delay_alu instid0(VALU_DEP_1) | instskip(NEXT) | instid1(VALU_DEP_1)
	v_div_fmas_f64 v[4:5], v[4:5], v[6:7], v[8:9]
	v_div_fixup_f64 v[2:3], v[4:5], v[2:3], 1.0
	global_store_b64 v12, v[2:3], s[6:7]
	global_load_b64 v[2:3], v12, s[0:1]
	s_waitcnt vmcnt(0)
	v_add_f64 v[2:3], v[0:1], -v[2:3]
	s_delay_alu instid0(VALU_DEP_1) | instskip(NEXT) | instid1(VALU_DEP_1)
	v_div_scale_f64 v[4:5], null, v[0:1], v[0:1], v[2:3]
	v_rcp_f64_e32 v[6:7], v[4:5]
	s_waitcnt_depctr 0xfff
	v_fma_f64 v[8:9], -v[4:5], v[6:7], 1.0
	s_delay_alu instid0(VALU_DEP_1) | instskip(NEXT) | instid1(VALU_DEP_1)
	v_fma_f64 v[6:7], v[6:7], v[8:9], v[6:7]
	v_fma_f64 v[8:9], -v[4:5], v[6:7], 1.0
	s_delay_alu instid0(VALU_DEP_1) | instskip(SKIP_1) | instid1(VALU_DEP_1)
	v_fma_f64 v[6:7], v[6:7], v[8:9], v[6:7]
	v_div_scale_f64 v[8:9], vcc_lo, v[2:3], v[0:1], v[2:3]
	v_mul_f64 v[10:11], v[8:9], v[6:7]
	s_delay_alu instid0(VALU_DEP_1) | instskip(NEXT) | instid1(VALU_DEP_1)
	v_fma_f64 v[4:5], -v[4:5], v[10:11], v[8:9]
	v_div_fmas_f64 v[4:5], v[4:5], v[6:7], v[10:11]
	s_delay_alu instid0(VALU_DEP_1)
	v_div_fixup_f64 v[2:3], v[4:5], v[0:1], v[2:3]
	global_store_b64 v12, v[2:3], s[4:5]
.LBB25_8:
	s_and_not1_b32 vcc_lo, exec_lo, s13
	s_cbranch_vccz .LBB25_11
; %bb.9:
	s_and_not1_b32 vcc_lo, exec_lo, s12
	s_cbranch_vccz .LBB25_12
; %bb.10:
	s_endpgm
.LBB25_11:
	v_dual_mov_b32 v2, s2 :: v_dual_mov_b32 v3, s3
	s_waitcnt vmcnt(0)
	flat_store_b64 v[2:3], v[0:1]
	v_mov_b32_e32 v0, 0
	v_mov_b32_e32 v1, 0x3ff00000
.LBB25_12:
	v_mov_b32_e32 v2, 0
	s_waitcnt vmcnt(0) lgkmcnt(0)
	global_store_b64 v2, v[0:1], s[0:1]
	s_endpgm
	.section	.rodata,"a",@progbits
	.p2align	6, 0x0
	.amdhsa_kernel _ZN9rocsolver6v33100L11set_taubetaIdidPdEEvPT_lS4_T2_llPT1_ll
		.amdhsa_group_segment_fixed_size 0
		.amdhsa_private_segment_fixed_size 0
		.amdhsa_kernarg_size 72
		.amdhsa_user_sgpr_count 15
		.amdhsa_user_sgpr_dispatch_ptr 0
		.amdhsa_user_sgpr_queue_ptr 0
		.amdhsa_user_sgpr_kernarg_segment_ptr 1
		.amdhsa_user_sgpr_dispatch_id 0
		.amdhsa_user_sgpr_private_segment_size 0
		.amdhsa_wavefront_size32 1
		.amdhsa_uses_dynamic_stack 0
		.amdhsa_enable_private_segment 0
		.amdhsa_system_sgpr_workgroup_id_x 1
		.amdhsa_system_sgpr_workgroup_id_y 0
		.amdhsa_system_sgpr_workgroup_id_z 0
		.amdhsa_system_sgpr_workgroup_info 0
		.amdhsa_system_vgpr_workitem_id 0
		.amdhsa_next_free_vgpr 13
		.amdhsa_next_free_sgpr 22
		.amdhsa_reserve_vcc 1
		.amdhsa_float_round_mode_32 0
		.amdhsa_float_round_mode_16_64 0
		.amdhsa_float_denorm_mode_32 3
		.amdhsa_float_denorm_mode_16_64 3
		.amdhsa_dx10_clamp 1
		.amdhsa_ieee_mode 1
		.amdhsa_fp16_overflow 0
		.amdhsa_workgroup_processor_mode 1
		.amdhsa_memory_ordered 1
		.amdhsa_forward_progress 0
		.amdhsa_shared_vgpr_count 0
		.amdhsa_exception_fp_ieee_invalid_op 0
		.amdhsa_exception_fp_denorm_src 0
		.amdhsa_exception_fp_ieee_div_zero 0
		.amdhsa_exception_fp_ieee_overflow 0
		.amdhsa_exception_fp_ieee_underflow 0
		.amdhsa_exception_fp_ieee_inexact 0
		.amdhsa_exception_int_div_zero 0
	.end_amdhsa_kernel
	.section	.text._ZN9rocsolver6v33100L11set_taubetaIdidPdEEvPT_lS4_T2_llPT1_ll,"axG",@progbits,_ZN9rocsolver6v33100L11set_taubetaIdidPdEEvPT_lS4_T2_llPT1_ll,comdat
.Lfunc_end25:
	.size	_ZN9rocsolver6v33100L11set_taubetaIdidPdEEvPT_lS4_T2_llPT1_ll, .Lfunc_end25-_ZN9rocsolver6v33100L11set_taubetaIdidPdEEvPT_lS4_T2_llPT1_ll
                                        ; -- End function
	.section	.AMDGPU.csdata,"",@progbits
; Kernel info:
; codeLenInByte = 904
; NumSgprs: 24
; NumVgprs: 13
; ScratchSize: 0
; MemoryBound: 0
; FloatMode: 240
; IeeeMode: 1
; LDSByteSize: 0 bytes/workgroup (compile time only)
; SGPRBlocks: 2
; VGPRBlocks: 1
; NumSGPRsForWavesPerEU: 24
; NumVGPRsForWavesPerEU: 13
; Occupancy: 16
; WaveLimiterHint : 0
; COMPUTE_PGM_RSRC2:SCRATCH_EN: 0
; COMPUTE_PGM_RSRC2:USER_SGPR: 15
; COMPUTE_PGM_RSRC2:TRAP_HANDLER: 0
; COMPUTE_PGM_RSRC2:TGID_X_EN: 1
; COMPUTE_PGM_RSRC2:TGID_Y_EN: 0
; COMPUTE_PGM_RSRC2:TGID_Z_EN: 0
; COMPUTE_PGM_RSRC2:TIDIG_COMP_CNT: 0
	.section	.text._ZN9rocsolver6v33100L13conj_in_placeIdiPdTnNSt9enable_ifIXnt18rocblas_is_complexIT_EEiE4typeELi0EEEvT0_S7_T1_lS7_l,"axG",@progbits,_ZN9rocsolver6v33100L13conj_in_placeIdiPdTnNSt9enable_ifIXnt18rocblas_is_complexIT_EEiE4typeELi0EEEvT0_S7_T1_lS7_l,comdat
	.globl	_ZN9rocsolver6v33100L13conj_in_placeIdiPdTnNSt9enable_ifIXnt18rocblas_is_complexIT_EEiE4typeELi0EEEvT0_S7_T1_lS7_l ; -- Begin function _ZN9rocsolver6v33100L13conj_in_placeIdiPdTnNSt9enable_ifIXnt18rocblas_is_complexIT_EEiE4typeELi0EEEvT0_S7_T1_lS7_l
	.p2align	8
	.type	_ZN9rocsolver6v33100L13conj_in_placeIdiPdTnNSt9enable_ifIXnt18rocblas_is_complexIT_EEiE4typeELi0EEEvT0_S7_T1_lS7_l,@function
_ZN9rocsolver6v33100L13conj_in_placeIdiPdTnNSt9enable_ifIXnt18rocblas_is_complexIT_EEiE4typeELi0EEEvT0_S7_T1_lS7_l: ; @_ZN9rocsolver6v33100L13conj_in_placeIdiPdTnNSt9enable_ifIXnt18rocblas_is_complexIT_EEiE4typeELi0EEEvT0_S7_T1_lS7_l
; %bb.0:
	s_endpgm
	.section	.rodata,"a",@progbits
	.p2align	6, 0x0
	.amdhsa_kernel _ZN9rocsolver6v33100L13conj_in_placeIdiPdTnNSt9enable_ifIXnt18rocblas_is_complexIT_EEiE4typeELi0EEEvT0_S7_T1_lS7_l
		.amdhsa_group_segment_fixed_size 0
		.amdhsa_private_segment_fixed_size 0
		.amdhsa_kernarg_size 40
		.amdhsa_user_sgpr_count 15
		.amdhsa_user_sgpr_dispatch_ptr 0
		.amdhsa_user_sgpr_queue_ptr 0
		.amdhsa_user_sgpr_kernarg_segment_ptr 1
		.amdhsa_user_sgpr_dispatch_id 0
		.amdhsa_user_sgpr_private_segment_size 0
		.amdhsa_wavefront_size32 1
		.amdhsa_uses_dynamic_stack 0
		.amdhsa_enable_private_segment 0
		.amdhsa_system_sgpr_workgroup_id_x 1
		.amdhsa_system_sgpr_workgroup_id_y 0
		.amdhsa_system_sgpr_workgroup_id_z 0
		.amdhsa_system_sgpr_workgroup_info 0
		.amdhsa_system_vgpr_workitem_id 0
		.amdhsa_next_free_vgpr 1
		.amdhsa_next_free_sgpr 1
		.amdhsa_reserve_vcc 0
		.amdhsa_float_round_mode_32 0
		.amdhsa_float_round_mode_16_64 0
		.amdhsa_float_denorm_mode_32 3
		.amdhsa_float_denorm_mode_16_64 3
		.amdhsa_dx10_clamp 1
		.amdhsa_ieee_mode 1
		.amdhsa_fp16_overflow 0
		.amdhsa_workgroup_processor_mode 1
		.amdhsa_memory_ordered 1
		.amdhsa_forward_progress 0
		.amdhsa_shared_vgpr_count 0
		.amdhsa_exception_fp_ieee_invalid_op 0
		.amdhsa_exception_fp_denorm_src 0
		.amdhsa_exception_fp_ieee_div_zero 0
		.amdhsa_exception_fp_ieee_overflow 0
		.amdhsa_exception_fp_ieee_underflow 0
		.amdhsa_exception_fp_ieee_inexact 0
		.amdhsa_exception_int_div_zero 0
	.end_amdhsa_kernel
	.section	.text._ZN9rocsolver6v33100L13conj_in_placeIdiPdTnNSt9enable_ifIXnt18rocblas_is_complexIT_EEiE4typeELi0EEEvT0_S7_T1_lS7_l,"axG",@progbits,_ZN9rocsolver6v33100L13conj_in_placeIdiPdTnNSt9enable_ifIXnt18rocblas_is_complexIT_EEiE4typeELi0EEEvT0_S7_T1_lS7_l,comdat
.Lfunc_end26:
	.size	_ZN9rocsolver6v33100L13conj_in_placeIdiPdTnNSt9enable_ifIXnt18rocblas_is_complexIT_EEiE4typeELi0EEEvT0_S7_T1_lS7_l, .Lfunc_end26-_ZN9rocsolver6v33100L13conj_in_placeIdiPdTnNSt9enable_ifIXnt18rocblas_is_complexIT_EEiE4typeELi0EEEvT0_S7_T1_lS7_l
                                        ; -- End function
	.section	.AMDGPU.csdata,"",@progbits
; Kernel info:
; codeLenInByte = 4
; NumSgprs: 0
; NumVgprs: 0
; ScratchSize: 0
; MemoryBound: 0
; FloatMode: 240
; IeeeMode: 1
; LDSByteSize: 0 bytes/workgroup (compile time only)
; SGPRBlocks: 0
; VGPRBlocks: 0
; NumSGPRsForWavesPerEU: 1
; NumVGPRsForWavesPerEU: 1
; Occupancy: 16
; WaveLimiterHint : 0
; COMPUTE_PGM_RSRC2:SCRATCH_EN: 0
; COMPUTE_PGM_RSRC2:USER_SGPR: 15
; COMPUTE_PGM_RSRC2:TRAP_HANDLER: 0
; COMPUTE_PGM_RSRC2:TGID_X_EN: 1
; COMPUTE_PGM_RSRC2:TGID_Y_EN: 0
; COMPUTE_PGM_RSRC2:TGID_Z_EN: 0
; COMPUTE_PGM_RSRC2:TIDIG_COMP_CNT: 0
	.section	.text._ZN9rocsolver6v33100L16larf_left_kernelILi1024EdiPdEEvT1_S3_T2_lS3_lPKT0_lS4_lS3_l,"axG",@progbits,_ZN9rocsolver6v33100L16larf_left_kernelILi1024EdiPdEEvT1_S3_T2_lS3_lPKT0_lS4_lS3_l,comdat
	.globl	_ZN9rocsolver6v33100L16larf_left_kernelILi1024EdiPdEEvT1_S3_T2_lS3_lPKT0_lS4_lS3_l ; -- Begin function _ZN9rocsolver6v33100L16larf_left_kernelILi1024EdiPdEEvT1_S3_T2_lS3_lPKT0_lS4_lS3_l
	.p2align	8
	.type	_ZN9rocsolver6v33100L16larf_left_kernelILi1024EdiPdEEvT1_S3_T2_lS3_lPKT0_lS4_lS3_l,@function
_ZN9rocsolver6v33100L16larf_left_kernelILi1024EdiPdEEvT1_S3_T2_lS3_lPKT0_lS4_lS3_l: ; @_ZN9rocsolver6v33100L16larf_left_kernelILi1024EdiPdEEvT1_S3_T2_lS3_lPKT0_lS4_lS3_l
; %bb.0:
	s_clause 0x4
	s_load_b32 s20, s[0:1], 0x0
	s_load_b64 s[2:3], s[0:1], 0x50
	s_load_b32 s16, s[0:1], 0x48
	s_load_b64 s[12:13], s[0:1], 0x40
	s_load_b256 s[4:11], s[0:1], 0x20
	v_mov_b32_e32 v1, 0
	v_dual_mov_b32 v2, 0 :: v_dual_lshlrev_b32 v5, 3, v0
	s_ashr_i32 s24, s15, 31
	s_waitcnt lgkmcnt(0)
	v_cmp_gt_i32_e32 vcc_lo, s20, v0
	s_mul_i32 s21, s2, s24
	s_mul_hi_u32 s22, s2, s15
	s_mul_i32 s23, s3, s15
	s_mul_i32 s18, s2, s15
	s_mul_hi_i32 s17, s14, s16
	s_mul_i32 s16, s14, s16
	s_and_saveexec_b32 s14, vcc_lo
	s_cbranch_execz .LBB27_6
; %bb.1:
	s_clause 0x1
	s_load_b32 s26, s[0:1], 0x18
	s_load_b128 s[0:3], s[0:1], 0x8
	s_sub_i32 s19, 1, s20
	s_mul_i32 s25, s4, s24
	s_mul_hi_u32 s29, s4, s15
	s_mul_i32 s5, s5, s15
	s_mul_i32 s4, s4, s15
	v_add3_u32 v6, v5, 0, 0x100
	s_delay_alu instid0(VALU_DEP_1)
	v_dual_mov_b32 v4, v0 :: v_dual_mov_b32 v3, v6
	s_waitcnt lgkmcnt(0)
	s_ashr_i32 s27, s26, 31
	v_mad_i64_i32 v[1:2], null, s26, v0, 0
	v_cmp_lt_i64_e64 s28, s[26:27], 1
	s_mul_i32 s19, s19, s26
	s_delay_alu instid0(VALU_DEP_1)
	s_and_b32 s28, s28, exec_lo
	s_cselect_b32 s28, s19, 0
	s_add_i32 s19, s29, s25
	s_ashr_i32 s29, s28, 31
	s_add_i32 s5, s19, s5
	s_lshl_b64 s[28:29], s[28:29], 3
	s_lshl_b64 s[2:3], s[2:3], 3
	;; [unrolled: 1-line block ×3, first 2 shown]
	v_lshlrev_b64 v[1:2], 3, v[1:2]
	s_add_u32 s0, s0, s28
	s_addc_u32 s1, s1, s29
	s_add_u32 s0, s0, s2
	s_addc_u32 s1, s1, s3
	;; [unrolled: 2-line block ×3, first 2 shown]
	v_add_co_u32 v1, s0, s0, v1
	s_delay_alu instid0(VALU_DEP_1)
	v_add_co_ci_u32_e64 v2, s0, s1, v2, s0
	s_mov_b32 s4, 0
	s_lshl_b64 s[2:3], s[26:27], 13
	.p2align	6
.LBB27_2:                               ; =>This Inner Loop Header: Depth=1
	global_load_b64 v[7:8], v[1:2], off
	v_add_nc_u32_e32 v4, 0x400, v4
	v_add_co_u32 v1, s0, v1, s2
	s_delay_alu instid0(VALU_DEP_1) | instskip(NEXT) | instid1(VALU_DEP_3)
	v_add_co_ci_u32_e64 v2, s0, s3, v2, s0
	v_cmp_le_i32_e64 s1, s20, v4
	s_delay_alu instid0(VALU_DEP_1)
	s_or_b32 s4, s1, s4
	s_waitcnt vmcnt(0)
	ds_store_b64 v3, v[7:8]
	v_add_nc_u32_e32 v3, 0x2000, v3
	s_and_not1_b32 exec_lo, exec_lo, s4
	s_cbranch_execnz .LBB27_2
; %bb.3:
	s_or_b32 exec_lo, exec_lo, s4
	s_add_i32 s0, s22, s21
	v_lshlrev_b32_e32 v1, 3, v0
	s_add_i32 s19, s0, s23
	s_lshl_b64 s[0:1], s[16:17], 3
	s_lshl_b64 s[2:3], s[18:19], 3
	v_mov_b32_e32 v7, v0
	s_add_u32 s2, s2, s0
	s_addc_u32 s3, s3, s1
	s_lshl_b64 s[0:1], s[12:13], 3
	s_delay_alu instid0(SALU_CYCLE_1)
	s_add_u32 s0, s2, s0
	s_addc_u32 s1, s3, s1
	s_add_u32 s0, s10, s0
	s_addc_u32 s1, s11, s1
	v_add_co_u32 v3, s0, s0, v1
	v_mov_b32_e32 v1, 0
	v_add_co_ci_u32_e64 v4, null, s1, 0, s0
	v_mov_b32_e32 v2, 0
	s_mov_b32 s2, 0
	.p2align	6
.LBB27_4:                               ; =>This Inner Loop Header: Depth=1
	global_load_b64 v[8:9], v[3:4], off
	ds_load_b64 v[10:11], v6
	v_add_nc_u32_e32 v7, 0x400, v7
	v_add_co_u32 v3, s1, 0x2000, v3
	v_add_nc_u32_e32 v6, 0x2000, v6
	v_add_co_ci_u32_e64 v4, s1, 0, v4, s1
	s_delay_alu instid0(VALU_DEP_4) | instskip(NEXT) | instid1(VALU_DEP_1)
	v_cmp_le_i32_e64 s0, s20, v7
	s_or_b32 s2, s0, s2
	s_waitcnt vmcnt(0) lgkmcnt(0)
	v_mul_f64 v[8:9], v[8:9], v[10:11]
	s_delay_alu instid0(VALU_DEP_1)
	v_add_f64 v[1:2], v[1:2], v[8:9]
	s_and_not1_b32 exec_lo, exec_lo, s2
	s_cbranch_execnz .LBB27_4
; %bb.5:
	s_or_b32 exec_lo, exec_lo, s2
.LBB27_6:
	s_delay_alu instid0(SALU_CYCLE_1) | instskip(SKIP_2) | instid1(VALU_DEP_1)
	s_or_b32 exec_lo, exec_lo, s14
	v_mbcnt_lo_u32_b32 v6, -1, 0
	s_mov_b32 s1, exec_lo
	v_cmp_ne_u32_e64 s0, 31, v6
	s_delay_alu instid0(VALU_DEP_1) | instskip(SKIP_1) | instid1(VALU_DEP_2)
	v_add_co_ci_u32_e64 v3, s0, 0, v6, s0
	v_cmp_gt_u32_e64 s0, 30, v6
	v_lshlrev_b32_e32 v4, 2, v3
	ds_bpermute_b32 v3, v4, v1
	ds_bpermute_b32 v4, v4, v2
	s_waitcnt lgkmcnt(0)
	v_add_f64 v[1:2], v[1:2], v[3:4]
	v_cndmask_b32_e64 v3, 0, 1, s0
	v_cmp_gt_u32_e64 s0, 28, v6
	s_delay_alu instid0(VALU_DEP_2) | instskip(NEXT) | instid1(VALU_DEP_1)
	v_lshlrev_b32_e32 v3, 1, v3
	v_add_lshl_u32 v4, v3, v6, 2
	ds_bpermute_b32 v3, v4, v1
	ds_bpermute_b32 v4, v4, v2
	s_waitcnt lgkmcnt(0)
	v_add_f64 v[1:2], v[1:2], v[3:4]
	v_cndmask_b32_e64 v3, 0, 1, s0
	v_cmp_gt_u32_e64 s0, 24, v6
	s_delay_alu instid0(VALU_DEP_2) | instskip(NEXT) | instid1(VALU_DEP_1)
	v_lshlrev_b32_e32 v3, 2, v3
	v_add_lshl_u32 v4, v3, v6, 2
	ds_bpermute_b32 v3, v4, v1
	ds_bpermute_b32 v4, v4, v2
	s_waitcnt lgkmcnt(0)
	v_add_f64 v[1:2], v[1:2], v[3:4]
	v_cndmask_b32_e64 v3, 0, 1, s0
	v_cmp_gt_u32_e64 s0, 16, v6
	s_delay_alu instid0(VALU_DEP_2) | instskip(NEXT) | instid1(VALU_DEP_1)
	v_lshlrev_b32_e32 v3, 3, v3
	v_add_lshl_u32 v4, v3, v6, 2
	ds_bpermute_b32 v3, v4, v1
	ds_bpermute_b32 v4, v4, v2
	s_waitcnt lgkmcnt(0)
	v_add_f64 v[1:2], v[1:2], v[3:4]
	v_cndmask_b32_e64 v3, 0, 1, s0
	s_delay_alu instid0(VALU_DEP_1) | instskip(NEXT) | instid1(VALU_DEP_1)
	v_lshlrev_b32_e32 v3, 4, v3
	v_add_lshl_u32 v4, v3, v6, 2
	ds_bpermute_b32 v3, v4, v1
	ds_bpermute_b32 v4, v4, v2
	s_waitcnt lgkmcnt(0)
	v_add_f64 v[1:2], v[1:2], v[3:4]
	v_and_b32_e32 v3, 31, v0
	s_delay_alu instid0(VALU_DEP_1)
	v_cmpx_eq_u32_e32 0, v3
	s_cbranch_execz .LBB27_8
; %bb.7:
	v_lshrrev_b32_e32 v3, 2, v0
	s_delay_alu instid0(VALU_DEP_1)
	v_add_nc_u32_e32 v3, 0, v3
	ds_store_b64 v3, v[1:2]
.LBB27_8:
	s_or_b32 exec_lo, exec_lo, s1
	s_delay_alu instid0(SALU_CYCLE_1)
	s_mov_b32 s1, exec_lo
	s_waitcnt lgkmcnt(0)
	s_barrier
	buffer_gl0_inv
	v_cmpx_eq_u32_e32 0, v0
	s_cbranch_execz .LBB27_10
; %bb.9:
	v_mov_b32_e32 v14, 0
	ds_load_2addr_b64 v[6:9], v14 offset0:1 offset1:2
	ds_load_2addr_b64 v[10:13], v14 offset0:3 offset1:4
	s_waitcnt lgkmcnt(1)
	v_add_f64 v[1:2], v[1:2], v[6:7]
	s_delay_alu instid0(VALU_DEP_1) | instskip(SKIP_1) | instid1(VALU_DEP_1)
	v_add_f64 v[1:2], v[1:2], v[8:9]
	s_waitcnt lgkmcnt(0)
	v_add_f64 v[1:2], v[1:2], v[10:11]
	s_delay_alu instid0(VALU_DEP_1) | instskip(SKIP_4) | instid1(VALU_DEP_1)
	v_add_f64 v[10:11], v[1:2], v[12:13]
	ds_load_2addr_b64 v[1:4], v14 offset0:5 offset1:6
	ds_load_2addr_b64 v[6:9], v14 offset0:7 offset1:8
	s_waitcnt lgkmcnt(1)
	v_add_f64 v[1:2], v[10:11], v[1:2]
	v_add_f64 v[1:2], v[1:2], v[3:4]
	s_waitcnt lgkmcnt(0)
	s_delay_alu instid0(VALU_DEP_1) | instskip(NEXT) | instid1(VALU_DEP_1)
	v_add_f64 v[1:2], v[1:2], v[6:7]
	v_add_f64 v[10:11], v[1:2], v[8:9]
	ds_load_2addr_b64 v[1:4], v14 offset0:9 offset1:10
	ds_load_2addr_b64 v[6:9], v14 offset0:11 offset1:12
	s_waitcnt lgkmcnt(1)
	v_add_f64 v[1:2], v[10:11], v[1:2]
	s_delay_alu instid0(VALU_DEP_1) | instskip(SKIP_1) | instid1(VALU_DEP_1)
	v_add_f64 v[1:2], v[1:2], v[3:4]
	s_waitcnt lgkmcnt(0)
	v_add_f64 v[1:2], v[1:2], v[6:7]
	s_delay_alu instid0(VALU_DEP_1) | instskip(SKIP_4) | instid1(VALU_DEP_1)
	v_add_f64 v[10:11], v[1:2], v[8:9]
	ds_load_2addr_b64 v[1:4], v14 offset0:13 offset1:14
	ds_load_2addr_b64 v[6:9], v14 offset0:15 offset1:16
	s_waitcnt lgkmcnt(1)
	v_add_f64 v[1:2], v[10:11], v[1:2]
	v_add_f64 v[1:2], v[1:2], v[3:4]
	s_waitcnt lgkmcnt(0)
	s_delay_alu instid0(VALU_DEP_1) | instskip(NEXT) | instid1(VALU_DEP_1)
	v_add_f64 v[1:2], v[1:2], v[6:7]
	v_add_f64 v[10:11], v[1:2], v[8:9]
	;; [unrolled: 19-line block ×3, first 2 shown]
	ds_load_2addr_b64 v[1:4], v14 offset0:25 offset1:26
	ds_load_2addr_b64 v[6:9], v14 offset0:27 offset1:28
	s_waitcnt lgkmcnt(1)
	v_add_f64 v[1:2], v[10:11], v[1:2]
	s_delay_alu instid0(VALU_DEP_1) | instskip(SKIP_1) | instid1(VALU_DEP_1)
	v_add_f64 v[1:2], v[1:2], v[3:4]
	s_waitcnt lgkmcnt(0)
	v_add_f64 v[1:2], v[1:2], v[6:7]
	s_delay_alu instid0(VALU_DEP_1) | instskip(SKIP_4) | instid1(VALU_DEP_1)
	v_add_f64 v[6:7], v[1:2], v[8:9]
	ds_load_2addr_b64 v[1:4], v14 offset0:29 offset1:30
	ds_load_b64 v[8:9], v14 offset:248
	s_waitcnt lgkmcnt(1)
	v_add_f64 v[1:2], v[6:7], v[1:2]
	v_add_f64 v[1:2], v[1:2], v[3:4]
	s_waitcnt lgkmcnt(0)
	s_delay_alu instid0(VALU_DEP_1)
	v_add_f64 v[1:2], v[1:2], v[8:9]
	ds_store_b64 v14, v[1:2]
.LBB27_10:
	s_or_b32 exec_lo, exec_lo, s1
	s_waitcnt lgkmcnt(0)
	s_barrier
	buffer_gl0_inv
	s_and_saveexec_b32 s0, vcc_lo
	s_cbranch_execz .LBB27_13
; %bb.11:
	s_mul_i32 s0, s15, s9
	s_mul_hi_u32 s1, s15, s8
	s_mul_i32 s2, s24, s8
	s_add_i32 s1, s1, s0
	s_mul_i32 s0, s15, s8
	s_add_i32 s1, s1, s2
	v_mov_b32_e32 v1, 0
	s_lshl_b64 s[0:1], s[0:1], 3
	v_add3_u32 v6, v5, 0, 0x100
	s_add_u32 s0, s6, s0
	s_addc_u32 s1, s7, s1
	ds_load_b64 v[1:2], v1
	s_load_b64 s[0:1], s[0:1], 0x0
	s_lshl_b64 s[2:3], s[16:17], 3
	s_waitcnt lgkmcnt(0)
	v_mul_f64 v[1:2], v[1:2], -s[0:1]
	s_add_i32 s0, s22, s21
	s_delay_alu instid0(SALU_CYCLE_1) | instskip(NEXT) | instid1(SALU_CYCLE_1)
	s_add_i32 s19, s0, s23
	s_lshl_b64 s[0:1], s[18:19], 3
	s_delay_alu instid0(SALU_CYCLE_1) | instskip(SKIP_2) | instid1(SALU_CYCLE_1)
	s_add_u32 s2, s0, s2
	s_addc_u32 s3, s1, s3
	s_lshl_b64 s[0:1], s[12:13], 3
	s_add_u32 s0, s2, s0
	s_addc_u32 s1, s3, s1
	s_add_u32 s0, s10, s0
	s_addc_u32 s1, s11, s1
	v_add_co_u32 v3, s0, s0, v5
	s_delay_alu instid0(VALU_DEP_1)
	v_add_co_ci_u32_e64 v4, null, s1, 0, s0
	s_mov_b32 s1, 0
	.p2align	6
.LBB27_12:                              ; =>This Inner Loop Header: Depth=1
	global_load_b64 v[7:8], v[3:4], off
	ds_load_b64 v[9:10], v6
	v_add_nc_u32_e32 v0, 0x400, v0
	v_add_nc_u32_e32 v6, 0x2000, v6
	s_delay_alu instid0(VALU_DEP_2)
	v_cmp_le_i32_e32 vcc_lo, s20, v0
	s_or_b32 s1, vcc_lo, s1
	s_waitcnt vmcnt(0) lgkmcnt(0)
	v_fma_f64 v[7:8], v[1:2], v[9:10], v[7:8]
	global_store_b64 v[3:4], v[7:8], off
	v_add_co_u32 v3, s0, 0x2000, v3
	s_delay_alu instid0(VALU_DEP_1)
	v_add_co_ci_u32_e64 v4, s0, 0, v4, s0
	s_and_not1_b32 exec_lo, exec_lo, s1
	s_cbranch_execnz .LBB27_12
.LBB27_13:
	s_nop 0
	s_sendmsg sendmsg(MSG_DEALLOC_VGPRS)
	s_endpgm
	.section	.rodata,"a",@progbits
	.p2align	6, 0x0
	.amdhsa_kernel _ZN9rocsolver6v33100L16larf_left_kernelILi1024EdiPdEEvT1_S3_T2_lS3_lPKT0_lS4_lS3_l
		.amdhsa_group_segment_fixed_size 0
		.amdhsa_private_segment_fixed_size 0
		.amdhsa_kernarg_size 88
		.amdhsa_user_sgpr_count 13
		.amdhsa_user_sgpr_dispatch_ptr 0
		.amdhsa_user_sgpr_queue_ptr 0
		.amdhsa_user_sgpr_kernarg_segment_ptr 1
		.amdhsa_user_sgpr_dispatch_id 0
		.amdhsa_user_sgpr_private_segment_size 0
		.amdhsa_wavefront_size32 1
		.amdhsa_uses_dynamic_stack 0
		.amdhsa_enable_private_segment 0
		.amdhsa_system_sgpr_workgroup_id_x 1
		.amdhsa_system_sgpr_workgroup_id_y 1
		.amdhsa_system_sgpr_workgroup_id_z 1
		.amdhsa_system_sgpr_workgroup_info 0
		.amdhsa_system_vgpr_workitem_id 0
		.amdhsa_next_free_vgpr 15
		.amdhsa_next_free_sgpr 30
		.amdhsa_reserve_vcc 1
		.amdhsa_float_round_mode_32 0
		.amdhsa_float_round_mode_16_64 0
		.amdhsa_float_denorm_mode_32 3
		.amdhsa_float_denorm_mode_16_64 3
		.amdhsa_dx10_clamp 1
		.amdhsa_ieee_mode 1
		.amdhsa_fp16_overflow 0
		.amdhsa_workgroup_processor_mode 1
		.amdhsa_memory_ordered 1
		.amdhsa_forward_progress 0
		.amdhsa_shared_vgpr_count 0
		.amdhsa_exception_fp_ieee_invalid_op 0
		.amdhsa_exception_fp_denorm_src 0
		.amdhsa_exception_fp_ieee_div_zero 0
		.amdhsa_exception_fp_ieee_overflow 0
		.amdhsa_exception_fp_ieee_underflow 0
		.amdhsa_exception_fp_ieee_inexact 0
		.amdhsa_exception_int_div_zero 0
	.end_amdhsa_kernel
	.section	.text._ZN9rocsolver6v33100L16larf_left_kernelILi1024EdiPdEEvT1_S3_T2_lS3_lPKT0_lS4_lS3_l,"axG",@progbits,_ZN9rocsolver6v33100L16larf_left_kernelILi1024EdiPdEEvT1_S3_T2_lS3_lPKT0_lS4_lS3_l,comdat
.Lfunc_end27:
	.size	_ZN9rocsolver6v33100L16larf_left_kernelILi1024EdiPdEEvT1_S3_T2_lS3_lPKT0_lS4_lS3_l, .Lfunc_end27-_ZN9rocsolver6v33100L16larf_left_kernelILi1024EdiPdEEvT1_S3_T2_lS3_lPKT0_lS4_lS3_l
                                        ; -- End function
	.section	.AMDGPU.csdata,"",@progbits
; Kernel info:
; codeLenInByte = 1736
; NumSgprs: 32
; NumVgprs: 15
; ScratchSize: 0
; MemoryBound: 0
; FloatMode: 240
; IeeeMode: 1
; LDSByteSize: 0 bytes/workgroup (compile time only)
; SGPRBlocks: 3
; VGPRBlocks: 1
; NumSGPRsForWavesPerEU: 32
; NumVGPRsForWavesPerEU: 15
; Occupancy: 16
; WaveLimiterHint : 0
; COMPUTE_PGM_RSRC2:SCRATCH_EN: 0
; COMPUTE_PGM_RSRC2:USER_SGPR: 13
; COMPUTE_PGM_RSRC2:TRAP_HANDLER: 0
; COMPUTE_PGM_RSRC2:TGID_X_EN: 1
; COMPUTE_PGM_RSRC2:TGID_Y_EN: 1
; COMPUTE_PGM_RSRC2:TGID_Z_EN: 1
; COMPUTE_PGM_RSRC2:TIDIG_COMP_CNT: 0
	.section	.text._ZN9rocsolver6v33100L17larf_right_kernelILi1024EdiPdEEvT1_S3_T2_lS3_lPKT0_lS4_lS3_l,"axG",@progbits,_ZN9rocsolver6v33100L17larf_right_kernelILi1024EdiPdEEvT1_S3_T2_lS3_lPKT0_lS4_lS3_l,comdat
	.globl	_ZN9rocsolver6v33100L17larf_right_kernelILi1024EdiPdEEvT1_S3_T2_lS3_lPKT0_lS4_lS3_l ; -- Begin function _ZN9rocsolver6v33100L17larf_right_kernelILi1024EdiPdEEvT1_S3_T2_lS3_lPKT0_lS4_lS3_l
	.p2align	8
	.type	_ZN9rocsolver6v33100L17larf_right_kernelILi1024EdiPdEEvT1_S3_T2_lS3_lPKT0_lS4_lS3_l,@function
_ZN9rocsolver6v33100L17larf_right_kernelILi1024EdiPdEEvT1_S3_T2_lS3_lPKT0_lS4_lS3_l: ; @_ZN9rocsolver6v33100L17larf_right_kernelILi1024EdiPdEEvT1_S3_T2_lS3_lPKT0_lS4_lS3_l
; %bb.0:
	s_clause 0x4
	s_load_b32 s24, s[0:1], 0x4
	s_load_b64 s[16:17], s[0:1], 0x50
	s_load_b64 s[20:21], s[0:1], 0x40
	s_load_b32 s12, s[0:1], 0x48
	s_load_b256 s[4:11], s[0:1], 0x20
	v_mov_b32_e32 v1, 0
	v_dual_mov_b32 v2, 0 :: v_dual_lshlrev_b32 v5, 3, v0
	s_mov_b32 s2, s15
	s_ashr_i32 s27, s15, 31
	s_ashr_i32 s15, s14, 31
	s_waitcnt lgkmcnt(0)
	v_cmp_gt_i32_e32 vcc_lo, s24, v0
	s_mul_i32 s3, s16, s27
	s_mul_hi_u32 s26, s16, s2
	s_mul_i32 s25, s17, s2
	s_mul_i32 s22, s16, s2
	s_and_saveexec_b32 s28, vcc_lo
	s_cbranch_execz .LBB28_6
; %bb.1:
	s_clause 0x1
	s_load_b32 s30, s[0:1], 0x18
	s_load_b128 s[16:19], s[0:1], 0x8
	s_sub_i32 s1, 1, s24
	s_mul_i32 s13, s4, s27
	s_mul_hi_u32 s29, s4, s2
	s_mul_i32 s0, s4, s2
	s_mul_i32 s33, s5, s2
	v_add3_u32 v6, v5, 0, 0x100
	s_delay_alu instid0(VALU_DEP_1)
	v_dual_mov_b32 v4, v0 :: v_dual_mov_b32 v3, v6
	s_waitcnt lgkmcnt(0)
	s_ashr_i32 s31, s30, 31
	v_mad_i64_i32 v[1:2], null, s30, v0, 0
	v_cmp_lt_i64_e64 s23, s[30:31], 1
	s_mul_i32 s1, s1, s30
	s_delay_alu instid0(VALU_DEP_1)
	s_and_b32 s4, s23, exec_lo
	s_cselect_b32 s4, s1, 0
	s_add_i32 s1, s29, s13
	s_ashr_i32 s5, s4, 31
	s_add_i32 s1, s1, s33
	s_lshl_b64 s[4:5], s[4:5], 3
	s_lshl_b64 s[18:19], s[18:19], 3
	;; [unrolled: 1-line block ×3, first 2 shown]
	v_lshlrev_b64 v[1:2], 3, v[1:2]
	s_add_u32 s4, s16, s4
	s_addc_u32 s5, s17, s5
	s_add_u32 s4, s4, s18
	s_addc_u32 s5, s5, s19
	;; [unrolled: 2-line block ×3, first 2 shown]
	v_add_co_u32 v1, s0, s0, v1
	s_delay_alu instid0(VALU_DEP_1)
	v_add_co_ci_u32_e64 v2, s0, s1, v2, s0
	s_mov_b32 s13, 0
	s_lshl_b64 s[4:5], s[30:31], 13
	.p2align	6
.LBB28_2:                               ; =>This Inner Loop Header: Depth=1
	global_load_b64 v[7:8], v[1:2], off
	v_add_nc_u32_e32 v4, 0x400, v4
	v_add_co_u32 v1, s0, v1, s4
	s_delay_alu instid0(VALU_DEP_1) | instskip(NEXT) | instid1(VALU_DEP_3)
	v_add_co_ci_u32_e64 v2, s0, s5, v2, s0
	v_cmp_le_i32_e64 s1, s24, v4
	s_delay_alu instid0(VALU_DEP_1)
	s_or_b32 s13, s1, s13
	s_waitcnt vmcnt(0)
	ds_store_b64 v3, v[7:8]
	v_add_nc_u32_e32 v3, 0x2000, v3
	s_and_not1_b32 exec_lo, exec_lo, s13
	s_cbranch_execnz .LBB28_2
; %bb.3:
	s_or_b32 exec_lo, exec_lo, s13
	v_mad_i64_i32 v[1:2], null, s12, v0, 0
	s_add_i32 s4, s26, s3
	s_ashr_i32 s13, s12, 31
	s_add_i32 s23, s4, s25
	s_lshl_b64 s[4:5], s[14:15], 3
	s_lshl_b64 s[0:1], s[20:21], 3
	;; [unrolled: 1-line block ×3, first 2 shown]
	s_delay_alu instid0(VALU_DEP_1)
	v_lshlrev_b64 v[1:2], 3, v[1:2]
	s_add_u32 s4, s10, s4
	s_addc_u32 s5, s11, s5
	s_add_u32 s0, s4, s0
	s_addc_u32 s1, s5, s1
	;; [unrolled: 2-line block ×3, first 2 shown]
	v_add_co_u32 v3, s0, s0, v1
	s_delay_alu instid0(VALU_DEP_1)
	v_add_co_ci_u32_e64 v4, s0, s1, v2, s0
	v_mov_b32_e32 v1, 0
	v_dual_mov_b32 v2, 0 :: v_dual_mov_b32 v7, v0
	s_lshl_b64 s[4:5], s[12:13], 13
	s_mov_b32 s13, 0
	.p2align	6
.LBB28_4:                               ; =>This Inner Loop Header: Depth=1
	global_load_b64 v[8:9], v[3:4], off
	ds_load_b64 v[10:11], v6
	v_add_nc_u32_e32 v7, 0x400, v7
	v_add_co_u32 v3, s1, v3, s4
	v_add_nc_u32_e32 v6, 0x2000, v6
	v_add_co_ci_u32_e64 v4, s1, s5, v4, s1
	s_delay_alu instid0(VALU_DEP_4) | instskip(NEXT) | instid1(VALU_DEP_1)
	v_cmp_le_i32_e64 s0, s24, v7
	s_or_b32 s13, s0, s13
	s_waitcnt vmcnt(0) lgkmcnt(0)
	v_mul_f64 v[8:9], v[8:9], v[10:11]
	s_delay_alu instid0(VALU_DEP_1)
	v_add_f64 v[1:2], v[1:2], v[8:9]
	s_and_not1_b32 exec_lo, exec_lo, s13
	s_cbranch_execnz .LBB28_4
; %bb.5:
	s_or_b32 exec_lo, exec_lo, s13
.LBB28_6:
	s_delay_alu instid0(SALU_CYCLE_1) | instskip(SKIP_2) | instid1(VALU_DEP_1)
	s_or_b32 exec_lo, exec_lo, s28
	v_mbcnt_lo_u32_b32 v6, -1, 0
	s_mov_b32 s1, exec_lo
	v_cmp_ne_u32_e64 s0, 31, v6
	s_delay_alu instid0(VALU_DEP_1) | instskip(SKIP_1) | instid1(VALU_DEP_2)
	v_add_co_ci_u32_e64 v3, s0, 0, v6, s0
	v_cmp_gt_u32_e64 s0, 30, v6
	v_lshlrev_b32_e32 v4, 2, v3
	ds_bpermute_b32 v3, v4, v1
	ds_bpermute_b32 v4, v4, v2
	s_waitcnt lgkmcnt(0)
	v_add_f64 v[1:2], v[1:2], v[3:4]
	v_cndmask_b32_e64 v3, 0, 1, s0
	v_cmp_gt_u32_e64 s0, 28, v6
	s_delay_alu instid0(VALU_DEP_2) | instskip(NEXT) | instid1(VALU_DEP_1)
	v_lshlrev_b32_e32 v3, 1, v3
	v_add_lshl_u32 v4, v3, v6, 2
	ds_bpermute_b32 v3, v4, v1
	ds_bpermute_b32 v4, v4, v2
	s_waitcnt lgkmcnt(0)
	v_add_f64 v[1:2], v[1:2], v[3:4]
	v_cndmask_b32_e64 v3, 0, 1, s0
	v_cmp_gt_u32_e64 s0, 24, v6
	s_delay_alu instid0(VALU_DEP_2) | instskip(NEXT) | instid1(VALU_DEP_1)
	v_lshlrev_b32_e32 v3, 2, v3
	v_add_lshl_u32 v4, v3, v6, 2
	;; [unrolled: 9-line block ×3, first 2 shown]
	ds_bpermute_b32 v3, v4, v1
	ds_bpermute_b32 v4, v4, v2
	s_waitcnt lgkmcnt(0)
	v_add_f64 v[1:2], v[1:2], v[3:4]
	v_cndmask_b32_e64 v3, 0, 1, s0
	s_delay_alu instid0(VALU_DEP_1) | instskip(NEXT) | instid1(VALU_DEP_1)
	v_lshlrev_b32_e32 v3, 4, v3
	v_add_lshl_u32 v4, v3, v6, 2
	ds_bpermute_b32 v3, v4, v1
	ds_bpermute_b32 v4, v4, v2
	s_waitcnt lgkmcnt(0)
	v_add_f64 v[1:2], v[1:2], v[3:4]
	v_and_b32_e32 v3, 31, v0
	s_delay_alu instid0(VALU_DEP_1)
	v_cmpx_eq_u32_e32 0, v3
	s_cbranch_execz .LBB28_8
; %bb.7:
	v_lshrrev_b32_e32 v3, 2, v0
	s_delay_alu instid0(VALU_DEP_1)
	v_add_nc_u32_e32 v3, 0, v3
	ds_store_b64 v3, v[1:2]
.LBB28_8:
	s_or_b32 exec_lo, exec_lo, s1
	s_delay_alu instid0(SALU_CYCLE_1)
	s_mov_b32 s1, exec_lo
	s_waitcnt lgkmcnt(0)
	s_barrier
	buffer_gl0_inv
	v_cmpx_eq_u32_e32 0, v0
	s_cbranch_execz .LBB28_10
; %bb.9:
	v_mov_b32_e32 v14, 0
	ds_load_2addr_b64 v[6:9], v14 offset0:1 offset1:2
	ds_load_2addr_b64 v[10:13], v14 offset0:3 offset1:4
	s_waitcnt lgkmcnt(1)
	v_add_f64 v[1:2], v[1:2], v[6:7]
	s_delay_alu instid0(VALU_DEP_1) | instskip(SKIP_1) | instid1(VALU_DEP_1)
	v_add_f64 v[1:2], v[1:2], v[8:9]
	s_waitcnt lgkmcnt(0)
	v_add_f64 v[1:2], v[1:2], v[10:11]
	s_delay_alu instid0(VALU_DEP_1) | instskip(SKIP_4) | instid1(VALU_DEP_1)
	v_add_f64 v[10:11], v[1:2], v[12:13]
	ds_load_2addr_b64 v[1:4], v14 offset0:5 offset1:6
	ds_load_2addr_b64 v[6:9], v14 offset0:7 offset1:8
	s_waitcnt lgkmcnt(1)
	v_add_f64 v[1:2], v[10:11], v[1:2]
	v_add_f64 v[1:2], v[1:2], v[3:4]
	s_waitcnt lgkmcnt(0)
	s_delay_alu instid0(VALU_DEP_1) | instskip(NEXT) | instid1(VALU_DEP_1)
	v_add_f64 v[1:2], v[1:2], v[6:7]
	v_add_f64 v[10:11], v[1:2], v[8:9]
	ds_load_2addr_b64 v[1:4], v14 offset0:9 offset1:10
	ds_load_2addr_b64 v[6:9], v14 offset0:11 offset1:12
	s_waitcnt lgkmcnt(1)
	v_add_f64 v[1:2], v[10:11], v[1:2]
	s_delay_alu instid0(VALU_DEP_1) | instskip(SKIP_1) | instid1(VALU_DEP_1)
	v_add_f64 v[1:2], v[1:2], v[3:4]
	s_waitcnt lgkmcnt(0)
	v_add_f64 v[1:2], v[1:2], v[6:7]
	s_delay_alu instid0(VALU_DEP_1) | instskip(SKIP_4) | instid1(VALU_DEP_1)
	v_add_f64 v[10:11], v[1:2], v[8:9]
	ds_load_2addr_b64 v[1:4], v14 offset0:13 offset1:14
	ds_load_2addr_b64 v[6:9], v14 offset0:15 offset1:16
	s_waitcnt lgkmcnt(1)
	v_add_f64 v[1:2], v[10:11], v[1:2]
	v_add_f64 v[1:2], v[1:2], v[3:4]
	s_waitcnt lgkmcnt(0)
	s_delay_alu instid0(VALU_DEP_1) | instskip(NEXT) | instid1(VALU_DEP_1)
	v_add_f64 v[1:2], v[1:2], v[6:7]
	v_add_f64 v[10:11], v[1:2], v[8:9]
	;; [unrolled: 19-line block ×3, first 2 shown]
	ds_load_2addr_b64 v[1:4], v14 offset0:25 offset1:26
	ds_load_2addr_b64 v[6:9], v14 offset0:27 offset1:28
	s_waitcnt lgkmcnt(1)
	v_add_f64 v[1:2], v[10:11], v[1:2]
	s_delay_alu instid0(VALU_DEP_1) | instskip(SKIP_1) | instid1(VALU_DEP_1)
	v_add_f64 v[1:2], v[1:2], v[3:4]
	s_waitcnt lgkmcnt(0)
	v_add_f64 v[1:2], v[1:2], v[6:7]
	s_delay_alu instid0(VALU_DEP_1) | instskip(SKIP_4) | instid1(VALU_DEP_1)
	v_add_f64 v[6:7], v[1:2], v[8:9]
	ds_load_2addr_b64 v[1:4], v14 offset0:29 offset1:30
	ds_load_b64 v[8:9], v14 offset:248
	s_waitcnt lgkmcnt(1)
	v_add_f64 v[1:2], v[6:7], v[1:2]
	v_add_f64 v[1:2], v[1:2], v[3:4]
	s_waitcnt lgkmcnt(0)
	s_delay_alu instid0(VALU_DEP_1)
	v_add_f64 v[1:2], v[1:2], v[8:9]
	ds_store_b64 v14, v[1:2]
.LBB28_10:
	s_or_b32 exec_lo, exec_lo, s1
	s_waitcnt lgkmcnt(0)
	s_barrier
	buffer_gl0_inv
	s_and_saveexec_b32 s0, vcc_lo
	s_cbranch_execz .LBB28_13
; %bb.11:
	s_mul_i32 s0, s2, s9
	s_mul_hi_u32 s1, s2, s8
	s_mul_i32 s4, s27, s8
	s_add_i32 s1, s1, s0
	s_mul_i32 s0, s2, s8
	s_add_i32 s1, s1, s4
	v_mov_b32_e32 v1, 0
	s_lshl_b64 s[0:1], s[0:1], 3
	v_mad_i64_i32 v[3:4], null, s12, v0, 0
	s_add_u32 s0, s6, s0
	s_addc_u32 s1, s7, s1
	ds_load_b64 v[1:2], v1
	s_load_b64 s[0:1], s[0:1], 0x0
	s_ashr_i32 s13, s12, 31
	s_lshl_b64 s[4:5], s[20:21], 3
	v_lshlrev_b64 v[3:4], 3, v[3:4]
	v_add3_u32 v5, v5, 0, 0x100
	s_waitcnt lgkmcnt(0)
	v_mul_f64 v[1:2], v[1:2], -s[0:1]
	s_add_i32 s0, s26, s3
	s_lshl_b64 s[2:3], s[14:15], 3
	s_add_i32 s23, s0, s25
	s_delay_alu instid0(SALU_CYCLE_1)
	s_lshl_b64 s[0:1], s[22:23], 3
	s_add_u32 s2, s10, s2
	s_addc_u32 s3, s11, s3
	s_add_u32 s2, s2, s4
	s_addc_u32 s3, s3, s5
	;; [unrolled: 2-line block ×3, first 2 shown]
	v_add_co_u32 v3, vcc_lo, s0, v3
	v_add_co_ci_u32_e32 v4, vcc_lo, s1, v4, vcc_lo
	s_mov_b32 s1, 0
	s_lshl_b64 s[2:3], s[12:13], 13
	.p2align	6
.LBB28_12:                              ; =>This Inner Loop Header: Depth=1
	global_load_b64 v[6:7], v[3:4], off
	ds_load_b64 v[8:9], v5
	v_add_nc_u32_e32 v0, 0x400, v0
	v_add_nc_u32_e32 v5, 0x2000, v5
	s_delay_alu instid0(VALU_DEP_2)
	v_cmp_le_i32_e32 vcc_lo, s24, v0
	s_or_b32 s1, vcc_lo, s1
	s_waitcnt vmcnt(0) lgkmcnt(0)
	v_fma_f64 v[6:7], v[1:2], v[8:9], v[6:7]
	global_store_b64 v[3:4], v[6:7], off
	v_add_co_u32 v3, s0, v3, s2
	s_delay_alu instid0(VALU_DEP_1)
	v_add_co_ci_u32_e64 v4, s0, s3, v4, s0
	s_and_not1_b32 exec_lo, exec_lo, s1
	s_cbranch_execnz .LBB28_12
.LBB28_13:
	s_nop 0
	s_sendmsg sendmsg(MSG_DEALLOC_VGPRS)
	s_endpgm
	.section	.rodata,"a",@progbits
	.p2align	6, 0x0
	.amdhsa_kernel _ZN9rocsolver6v33100L17larf_right_kernelILi1024EdiPdEEvT1_S3_T2_lS3_lPKT0_lS4_lS3_l
		.amdhsa_group_segment_fixed_size 0
		.amdhsa_private_segment_fixed_size 0
		.amdhsa_kernarg_size 88
		.amdhsa_user_sgpr_count 13
		.amdhsa_user_sgpr_dispatch_ptr 0
		.amdhsa_user_sgpr_queue_ptr 0
		.amdhsa_user_sgpr_kernarg_segment_ptr 1
		.amdhsa_user_sgpr_dispatch_id 0
		.amdhsa_user_sgpr_private_segment_size 0
		.amdhsa_wavefront_size32 1
		.amdhsa_uses_dynamic_stack 0
		.amdhsa_enable_private_segment 0
		.amdhsa_system_sgpr_workgroup_id_x 1
		.amdhsa_system_sgpr_workgroup_id_y 1
		.amdhsa_system_sgpr_workgroup_id_z 1
		.amdhsa_system_sgpr_workgroup_info 0
		.amdhsa_system_vgpr_workitem_id 0
		.amdhsa_next_free_vgpr 15
		.amdhsa_next_free_sgpr 34
		.amdhsa_reserve_vcc 1
		.amdhsa_float_round_mode_32 0
		.amdhsa_float_round_mode_16_64 0
		.amdhsa_float_denorm_mode_32 3
		.amdhsa_float_denorm_mode_16_64 3
		.amdhsa_dx10_clamp 1
		.amdhsa_ieee_mode 1
		.amdhsa_fp16_overflow 0
		.amdhsa_workgroup_processor_mode 1
		.amdhsa_memory_ordered 1
		.amdhsa_forward_progress 0
		.amdhsa_shared_vgpr_count 0
		.amdhsa_exception_fp_ieee_invalid_op 0
		.amdhsa_exception_fp_denorm_src 0
		.amdhsa_exception_fp_ieee_div_zero 0
		.amdhsa_exception_fp_ieee_overflow 0
		.amdhsa_exception_fp_ieee_underflow 0
		.amdhsa_exception_fp_ieee_inexact 0
		.amdhsa_exception_int_div_zero 0
	.end_amdhsa_kernel
	.section	.text._ZN9rocsolver6v33100L17larf_right_kernelILi1024EdiPdEEvT1_S3_T2_lS3_lPKT0_lS4_lS3_l,"axG",@progbits,_ZN9rocsolver6v33100L17larf_right_kernelILi1024EdiPdEEvT1_S3_T2_lS3_lPKT0_lS4_lS3_l,comdat
.Lfunc_end28:
	.size	_ZN9rocsolver6v33100L17larf_right_kernelILi1024EdiPdEEvT1_S3_T2_lS3_lPKT0_lS4_lS3_l, .Lfunc_end28-_ZN9rocsolver6v33100L17larf_right_kernelILi1024EdiPdEEvT1_S3_T2_lS3_lPKT0_lS4_lS3_l
                                        ; -- End function
	.section	.AMDGPU.csdata,"",@progbits
; Kernel info:
; codeLenInByte = 1764
; NumSgprs: 36
; NumVgprs: 15
; ScratchSize: 0
; MemoryBound: 0
; FloatMode: 240
; IeeeMode: 1
; LDSByteSize: 0 bytes/workgroup (compile time only)
; SGPRBlocks: 4
; VGPRBlocks: 1
; NumSGPRsForWavesPerEU: 36
; NumVGPRsForWavesPerEU: 15
; Occupancy: 16
; WaveLimiterHint : 0
; COMPUTE_PGM_RSRC2:SCRATCH_EN: 0
; COMPUTE_PGM_RSRC2:USER_SGPR: 13
; COMPUTE_PGM_RSRC2:TRAP_HANDLER: 0
; COMPUTE_PGM_RSRC2:TGID_X_EN: 1
; COMPUTE_PGM_RSRC2:TGID_Y_EN: 1
; COMPUTE_PGM_RSRC2:TGID_Z_EN: 1
; COMPUTE_PGM_RSRC2:TIDIG_COMP_CNT: 0
	.section	.text._ZN9rocsolver6v33100L12restore_diagIdidPdEEvPT1_llT2_lT0_lS6_,"axG",@progbits,_ZN9rocsolver6v33100L12restore_diagIdidPdEEvPT1_llT2_lT0_lS6_,comdat
	.globl	_ZN9rocsolver6v33100L12restore_diagIdidPdEEvPT1_llT2_lT0_lS6_ ; -- Begin function _ZN9rocsolver6v33100L12restore_diagIdidPdEEvPT1_llT2_lT0_lS6_
	.p2align	8
	.type	_ZN9rocsolver6v33100L12restore_diagIdidPdEEvPT1_llT2_lT0_lS6_,@function
_ZN9rocsolver6v33100L12restore_diagIdidPdEEvPT1_llT2_lT0_lS6_: ; @_ZN9rocsolver6v33100L12restore_diagIdidPdEEvPT1_llT2_lT0_lS6_
; %bb.0:
	s_clause 0x1
	s_load_b32 s2, s[0:1], 0x4c
	s_load_b32 s3, s[0:1], 0x38
	v_bfe_u32 v2, v0, 10, 10
	s_waitcnt lgkmcnt(0)
	s_lshr_b32 s2, s2, 16
	s_delay_alu instid0(VALU_DEP_1) | instid1(SALU_CYCLE_1)
	v_mad_u64_u32 v[0:1], null, s15, s2, v[2:3]
	s_mov_b32 s2, exec_lo
	s_delay_alu instid0(VALU_DEP_1)
	v_cmpx_gt_i32_e64 s3, v0
	s_cbranch_execz .LBB29_2
; %bb.1:
	s_clause 0x3
	s_load_b64 s[2:3], s[0:1], 0x30
	s_load_b256 s[4:11], s[0:1], 0x0
	s_load_b32 s12, s[0:1], 0x28
	s_load_b64 s[0:1], s[0:1], 0x20
	s_ashr_i32 s13, s14, 31
	s_waitcnt lgkmcnt(0)
	s_mul_i32 s3, s14, s3
	s_mul_hi_u32 s15, s14, s2
	s_mul_i32 s16, s13, s2
	s_add_i32 s3, s15, s3
	s_mul_i32 s2, s14, s2
	s_add_i32 s3, s3, s16
	s_mul_i32 s9, s14, s9
	s_lshl_b64 s[2:3], s[2:3], 3
	s_mul_hi_u32 s15, s14, s8
	s_add_u32 s2, s10, s2
	s_addc_u32 s3, s11, s3
	s_lshl_b64 s[0:1], s[0:1], 3
	s_mul_i32 s13, s13, s8
	s_add_u32 s2, s2, s0
	v_mad_u64_u32 v[2:3], null, v0, s12, v[0:1]
	v_ashrrev_i32_e32 v1, 31, v0
	s_addc_u32 s3, s3, s1
	s_add_i32 s1, s15, s9
	s_mul_i32 s0, s14, s8
	s_add_i32 s1, s1, s13
	v_lshlrev_b64 v[0:1], 3, v[0:1]
	s_lshl_b64 s[0:1], s[0:1], 3
	v_ashrrev_i32_e32 v3, 31, v2
	s_add_u32 s4, s4, s0
	s_addc_u32 s5, s5, s1
	s_lshl_b64 s[0:1], s[6:7], 3
	s_delay_alu instid0(SALU_CYCLE_1)
	s_add_u32 s0, s4, s0
	s_addc_u32 s1, s5, s1
	v_add_co_u32 v0, vcc_lo, s0, v0
	v_add_co_ci_u32_e32 v1, vcc_lo, s1, v1, vcc_lo
	v_lshlrev_b64 v[2:3], 3, v[2:3]
	global_load_b64 v[0:1], v[0:1], off
	v_add_co_u32 v2, vcc_lo, s2, v2
	v_add_co_ci_u32_e32 v3, vcc_lo, s3, v3, vcc_lo
	s_waitcnt vmcnt(0)
	global_store_b64 v[2:3], v[0:1], off
.LBB29_2:
	s_nop 0
	s_sendmsg sendmsg(MSG_DEALLOC_VGPRS)
	s_endpgm
	.section	.rodata,"a",@progbits
	.p2align	6, 0x0
	.amdhsa_kernel _ZN9rocsolver6v33100L12restore_diagIdidPdEEvPT1_llT2_lT0_lS6_
		.amdhsa_group_segment_fixed_size 0
		.amdhsa_private_segment_fixed_size 0
		.amdhsa_kernarg_size 320
		.amdhsa_user_sgpr_count 14
		.amdhsa_user_sgpr_dispatch_ptr 0
		.amdhsa_user_sgpr_queue_ptr 0
		.amdhsa_user_sgpr_kernarg_segment_ptr 1
		.amdhsa_user_sgpr_dispatch_id 0
		.amdhsa_user_sgpr_private_segment_size 0
		.amdhsa_wavefront_size32 1
		.amdhsa_uses_dynamic_stack 0
		.amdhsa_enable_private_segment 0
		.amdhsa_system_sgpr_workgroup_id_x 1
		.amdhsa_system_sgpr_workgroup_id_y 1
		.amdhsa_system_sgpr_workgroup_id_z 0
		.amdhsa_system_sgpr_workgroup_info 0
		.amdhsa_system_vgpr_workitem_id 1
		.amdhsa_next_free_vgpr 4
		.amdhsa_next_free_sgpr 17
		.amdhsa_reserve_vcc 1
		.amdhsa_float_round_mode_32 0
		.amdhsa_float_round_mode_16_64 0
		.amdhsa_float_denorm_mode_32 3
		.amdhsa_float_denorm_mode_16_64 3
		.amdhsa_dx10_clamp 1
		.amdhsa_ieee_mode 1
		.amdhsa_fp16_overflow 0
		.amdhsa_workgroup_processor_mode 1
		.amdhsa_memory_ordered 1
		.amdhsa_forward_progress 0
		.amdhsa_shared_vgpr_count 0
		.amdhsa_exception_fp_ieee_invalid_op 0
		.amdhsa_exception_fp_denorm_src 0
		.amdhsa_exception_fp_ieee_div_zero 0
		.amdhsa_exception_fp_ieee_overflow 0
		.amdhsa_exception_fp_ieee_underflow 0
		.amdhsa_exception_fp_ieee_inexact 0
		.amdhsa_exception_int_div_zero 0
	.end_amdhsa_kernel
	.section	.text._ZN9rocsolver6v33100L12restore_diagIdidPdEEvPT1_llT2_lT0_lS6_,"axG",@progbits,_ZN9rocsolver6v33100L12restore_diagIdidPdEEvPT1_llT2_lT0_lS6_,comdat
.Lfunc_end29:
	.size	_ZN9rocsolver6v33100L12restore_diagIdidPdEEvPT1_llT2_lT0_lS6_, .Lfunc_end29-_ZN9rocsolver6v33100L12restore_diagIdidPdEEvPT1_llT2_lT0_lS6_
                                        ; -- End function
	.section	.AMDGPU.csdata,"",@progbits
; Kernel info:
; codeLenInByte = 300
; NumSgprs: 19
; NumVgprs: 4
; ScratchSize: 0
; MemoryBound: 0
; FloatMode: 240
; IeeeMode: 1
; LDSByteSize: 0 bytes/workgroup (compile time only)
; SGPRBlocks: 2
; VGPRBlocks: 0
; NumSGPRsForWavesPerEU: 19
; NumVGPRsForWavesPerEU: 4
; Occupancy: 16
; WaveLimiterHint : 0
; COMPUTE_PGM_RSRC2:SCRATCH_EN: 0
; COMPUTE_PGM_RSRC2:USER_SGPR: 14
; COMPUTE_PGM_RSRC2:TRAP_HANDLER: 0
; COMPUTE_PGM_RSRC2:TGID_X_EN: 1
; COMPUTE_PGM_RSRC2:TGID_Y_EN: 1
; COMPUTE_PGM_RSRC2:TGID_Z_EN: 0
; COMPUTE_PGM_RSRC2:TIDIG_COMP_CNT: 1
	.section	.text._ZN9rocsolver6v33100L14set_triangularIdPdTnNSt9enable_ifIXnt18rocblas_is_complexIT_EEiE4typeELi0EEEviiT0_iilPS4_lS8_il15rocblas_direct_15rocblas_storev_b,"axG",@progbits,_ZN9rocsolver6v33100L14set_triangularIdPdTnNSt9enable_ifIXnt18rocblas_is_complexIT_EEiE4typeELi0EEEviiT0_iilPS4_lS8_il15rocblas_direct_15rocblas_storev_b,comdat
	.globl	_ZN9rocsolver6v33100L14set_triangularIdPdTnNSt9enable_ifIXnt18rocblas_is_complexIT_EEiE4typeELi0EEEviiT0_iilPS4_lS8_il15rocblas_direct_15rocblas_storev_b ; -- Begin function _ZN9rocsolver6v33100L14set_triangularIdPdTnNSt9enable_ifIXnt18rocblas_is_complexIT_EEiE4typeELi0EEEviiT0_iilPS4_lS8_il15rocblas_direct_15rocblas_storev_b
	.p2align	8
	.type	_ZN9rocsolver6v33100L14set_triangularIdPdTnNSt9enable_ifIXnt18rocblas_is_complexIT_EEiE4typeELi0EEEviiT0_iilPS4_lS8_il15rocblas_direct_15rocblas_storev_b,@function
_ZN9rocsolver6v33100L14set_triangularIdPdTnNSt9enable_ifIXnt18rocblas_is_complexIT_EEiE4typeELi0EEEviiT0_iilPS4_lS8_il15rocblas_direct_15rocblas_storev_b: ; @_ZN9rocsolver6v33100L14set_triangularIdPdTnNSt9enable_ifIXnt18rocblas_is_complexIT_EEiE4typeELi0EEEviiT0_iilPS4_lS8_il15rocblas_direct_15rocblas_storev_b
; %bb.0:
	s_clause 0x1
	s_load_b32 s2, s[0:1], 0x64
	s_load_b64 s[16:17], s[0:1], 0x0
	v_and_b32_e32 v2, 0x3ff, v0
	v_bfe_u32 v4, v0, 10, 10
	s_waitcnt lgkmcnt(0)
	s_lshr_b32 s3, s2, 16
	s_and_b32 s2, s2, 0xffff
	s_delay_alu instid0(SALU_CYCLE_1) | instskip(SKIP_2) | instid1(VALU_DEP_1)
	v_mad_u64_u32 v[0:1], null, s13, s2, v[2:3]
	v_mad_u64_u32 v[2:3], null, s14, s3, v[4:5]
	s_mov_b32 s2, exec_lo
	v_max_u32_e32 v1, v0, v2
	s_delay_alu instid0(VALU_DEP_1)
	v_cmpx_gt_u32_e64 s17, v1
	s_cbranch_execz .LBB30_36
; %bb.1:
	s_clause 0x2
	s_load_b256 s[4:11], s[0:1], 0x18
	s_load_b64 s[2:3], s[0:1], 0x40
	s_load_b32 s12, s[0:1], 0x38
	s_waitcnt lgkmcnt(0)
	s_mul_i32 s9, s15, s9
	s_mul_hi_u32 s13, s15, s8
	s_mul_i32 s8, s15, s8
	s_add_i32 s9, s13, s9
	s_mul_i32 s3, s15, s3
	s_lshl_b64 s[8:9], s[8:9], 3
	s_mul_hi_u32 s18, s15, s2
	s_add_u32 s13, s6, s8
	s_mul_i32 s2, s15, s2
	s_addc_u32 s14, s7, s9
	s_add_i32 s3, s18, s3
	s_delay_alu instid0(SALU_CYCLE_1) | instskip(NEXT) | instid1(SALU_CYCLE_1)
	s_lshl_b64 s[2:3], s[2:3], 3
	s_add_u32 s6, s10, s2
	s_addc_u32 s7, s11, s3
	s_mov_b32 s2, exec_lo
	v_cmpx_ne_u32_e64 v2, v0
	s_xor_b32 s18, exec_lo, s2
	s_cbranch_execz .LBB30_34
; %bb.2:
	s_clause 0x1
	s_load_b128 s[8:11], s[0:1], 0x8
	s_load_b128 s[0:3], s[0:1], 0x48
	s_waitcnt lgkmcnt(0)
	s_mul_i32 s3, s15, s5
	s_mul_hi_u32 s5, s15, s4
	s_mul_i32 s4, s15, s4
	s_add_i32 s5, s5, s3
	v_mov_b32_e32 v1, 0
	s_lshl_b64 s[4:5], s[4:5], 3
	s_ashr_i32 s21, s10, 31
	s_mov_b32 s20, s10
	s_add_u32 s3, s8, s4
	s_addc_u32 s8, s9, s5
	s_lshl_b64 s[4:5], s[20:21], 3
	s_delay_alu instid0(SALU_CYCLE_1) | instskip(SKIP_3) | instid1(SALU_CYCLE_1)
	s_add_u32 s3, s3, s4
	s_addc_u32 s4, s8, s5
	s_bitcmp1_b32 s2, 0
	s_cselect_b32 s2, -1, 0
	s_xor_b32 s2, s2, -1
	s_cmpk_lg_i32 s0, 0xab
	s_mov_b32 s0, -1
	s_cbranch_scc0 .LBB30_18
; %bb.3:
	s_mov_b32 s0, exec_lo
	v_cmpx_le_u32_e64 v2, v0
	s_xor_b32 s0, exec_lo, s0
	s_cbranch_execz .LBB30_5
; %bb.4:
	v_mad_u64_u32 v[4:5], null, v0, s12, 0
	s_ashr_i32 s5, s12, 31
	s_delay_alu instid0(VALU_DEP_1) | instskip(NEXT) | instid1(VALU_DEP_1)
	v_mov_b32_e32 v3, v5
	v_mad_u64_u32 v[5:6], null, v0, s5, v[3:4]
	v_mov_b32_e32 v3, 0
	s_delay_alu instid0(VALU_DEP_1) | instskip(NEXT) | instid1(VALU_DEP_3)
	v_lshlrev_b64 v[6:7], 3, v[2:3]
	v_lshlrev_b64 v[4:5], 3, v[4:5]
	s_delay_alu instid0(VALU_DEP_1) | instskip(NEXT) | instid1(VALU_DEP_2)
	v_add_co_u32 v8, vcc_lo, s6, v4
	v_add_co_ci_u32_e32 v5, vcc_lo, s7, v5, vcc_lo
	v_mov_b32_e32 v4, v3
	s_delay_alu instid0(VALU_DEP_3) | instskip(NEXT) | instid1(VALU_DEP_3)
	v_add_co_u32 v6, vcc_lo, v8, v6
	v_add_co_ci_u32_e32 v7, vcc_lo, v5, v7, vcc_lo
	v_mov_b32_e32 v5, v3
	global_store_b64 v[6:7], v[4:5], off
.LBB30_5:
	s_and_not1_saveexec_b32 s0, s0
	s_cbranch_execz .LBB30_17
; %bb.6:
	v_lshlrev_b64 v[3:4], 3, v[0:1]
	s_cmpk_lg_i32 s1, 0xb5
	s_mov_b32 s5, -1
	s_delay_alu instid0(VALU_DEP_1) | instskip(NEXT) | instid1(VALU_DEP_2)
	v_add_co_u32 v3, vcc_lo, s13, v3
	v_add_co_ci_u32_e32 v4, vcc_lo, s14, v4, vcc_lo
	global_load_b64 v[4:5], v[3:4], off
	s_cbranch_scc0 .LBB30_12
; %bb.7:
	v_mov_b32_e32 v3, 0
	s_and_not1_b32 vcc_lo, exec_lo, s2
	s_delay_alu instid0(VALU_DEP_1)
	v_lshlrev_b64 v[6:7], 3, v[2:3]
	s_cbranch_vccnz .LBB30_9
; %bb.8:
	s_sub_i32 s5, s16, s17
	s_delay_alu instid0(SALU_CYCLE_1) | instskip(SKIP_1) | instid1(VALU_DEP_1)
	v_add_nc_u32_e32 v11, s5, v0
	s_ashr_i32 s5, s11, 31
	v_mad_u64_u32 v[8:9], null, v11, s11, 0
	s_delay_alu instid0(VALU_DEP_1) | instskip(SKIP_1) | instid1(VALU_DEP_1)
	v_mov_b32_e32 v3, v9
	s_waitcnt vmcnt(0)
	v_mad_u64_u32 v[9:10], null, v11, s5, v[3:4]
	v_mad_u64_u32 v[10:11], null, v0, s12, 0
	s_ashr_i32 s5, s12, 31
	s_delay_alu instid0(VALU_DEP_2) | instskip(NEXT) | instid1(VALU_DEP_1)
	v_lshlrev_b64 v[8:9], 3, v[8:9]
	v_add_co_u32 v3, vcc_lo, s3, v8
	s_delay_alu instid0(VALU_DEP_2) | instskip(NEXT) | instid1(VALU_DEP_2)
	v_add_co_ci_u32_e32 v9, vcc_lo, s4, v9, vcc_lo
	v_add_co_u32 v8, vcc_lo, v3, v6
	s_delay_alu instid0(VALU_DEP_2) | instskip(SKIP_4) | instid1(VALU_DEP_1)
	v_add_co_ci_u32_e32 v9, vcc_lo, v9, v7, vcc_lo
	v_mov_b32_e32 v3, v11
	global_load_b64 v[8:9], v[8:9], off
	v_mad_u64_u32 v[11:12], null, v0, s5, v[3:4]
	s_mov_b32 s5, 0
	v_lshlrev_b64 v[10:11], 3, v[10:11]
	s_delay_alu instid0(VALU_DEP_1) | instskip(NEXT) | instid1(VALU_DEP_2)
	v_add_co_u32 v3, vcc_lo, s6, v10
	v_add_co_ci_u32_e32 v11, vcc_lo, s7, v11, vcc_lo
	s_delay_alu instid0(VALU_DEP_2) | instskip(NEXT) | instid1(VALU_DEP_2)
	v_add_co_u32 v10, vcc_lo, v3, v6
	v_add_co_ci_u32_e32 v11, vcc_lo, v11, v7, vcc_lo
	s_waitcnt vmcnt(0)
	v_mul_f64 v[8:9], v[8:9], -v[4:5]
	global_store_b64 v[10:11], v[8:9], off
.LBB30_9:
	s_and_not1_b32 vcc_lo, exec_lo, s5
	s_cbranch_vccnz .LBB30_11
; %bb.10:
	v_mad_u64_u32 v[8:9], null, v0, s12, 0
	s_sub_i32 s5, s16, s17
	s_delay_alu instid0(SALU_CYCLE_1) | instskip(SKIP_1) | instid1(VALU_DEP_2)
	v_add_nc_u32_e32 v14, s5, v0
	s_ashr_i32 s5, s12, 31
	v_mov_b32_e32 v3, v9
	s_delay_alu instid0(VALU_DEP_2) | instskip(NEXT) | instid1(VALU_DEP_1)
	v_mad_u64_u32 v[10:11], null, v14, s11, 0
	v_mov_b32_e32 v9, v11
	s_waitcnt vmcnt(0)
	s_delay_alu instid0(VALU_DEP_3)
	v_mad_u64_u32 v[11:12], null, v0, s5, v[3:4]
	s_ashr_i32 s5, s11, 31
	s_delay_alu instid0(VALU_DEP_2) | instid1(SALU_CYCLE_1)
	v_mad_u64_u32 v[12:13], null, v14, s5, v[9:10]
	s_delay_alu instid0(VALU_DEP_2) | instskip(NEXT) | instid1(VALU_DEP_2)
	v_mov_b32_e32 v9, v11
	v_mov_b32_e32 v11, v12
	s_delay_alu instid0(VALU_DEP_2) | instskip(NEXT) | instid1(VALU_DEP_2)
	v_lshlrev_b64 v[8:9], 3, v[8:9]
	v_lshlrev_b64 v[10:11], 3, v[10:11]
	s_delay_alu instid0(VALU_DEP_2) | instskip(NEXT) | instid1(VALU_DEP_3)
	v_add_co_u32 v3, vcc_lo, s6, v8
	v_add_co_ci_u32_e32 v9, vcc_lo, s7, v9, vcc_lo
	s_delay_alu instid0(VALU_DEP_3) | instskip(NEXT) | instid1(VALU_DEP_4)
	v_add_co_u32 v10, vcc_lo, s3, v10
	v_add_co_ci_u32_e32 v11, vcc_lo, s4, v11, vcc_lo
	s_delay_alu instid0(VALU_DEP_4) | instskip(NEXT) | instid1(VALU_DEP_4)
	v_add_co_u32 v8, vcc_lo, v3, v6
	v_add_co_ci_u32_e32 v9, vcc_lo, v9, v7, vcc_lo
	s_delay_alu instid0(VALU_DEP_4) | instskip(NEXT) | instid1(VALU_DEP_4)
	v_add_co_u32 v6, vcc_lo, v10, v6
	v_add_co_ci_u32_e32 v7, vcc_lo, v11, v7, vcc_lo
	global_load_b64 v[10:11], v[8:9], off
	global_load_b64 v[6:7], v[6:7], off
	s_waitcnt vmcnt(0)
	v_add_f64 v[6:7], v[10:11], v[6:7]
	s_delay_alu instid0(VALU_DEP_1)
	v_mul_f64 v[6:7], v[6:7], -v[4:5]
	global_store_b64 v[8:9], v[6:7], off
.LBB30_11:
	s_mov_b32 s5, 0
.LBB30_12:
	s_delay_alu instid0(SALU_CYCLE_1)
	s_and_not1_b32 vcc_lo, exec_lo, s5
	s_cbranch_vccnz .LBB30_17
; %bb.13:
	s_and_not1_b32 vcc_lo, exec_lo, s2
	s_mov_b32 s5, -1
	s_cbranch_vccnz .LBB30_15
; %bb.14:
	v_mad_u64_u32 v[6:7], null, v2, s11, 0
	s_ashr_i32 s5, s11, 31
	v_mov_b32_e32 v9, 0
	s_delay_alu instid0(VALU_DEP_2) | instskip(SKIP_1) | instid1(VALU_DEP_1)
	v_mov_b32_e32 v3, v7
	s_waitcnt vmcnt(0)
	v_mad_u64_u32 v[7:8], null, v2, s5, v[3:4]
	s_sub_i32 s5, s16, s17
	s_delay_alu instid0(SALU_CYCLE_1) | instskip(SKIP_1) | instid1(VALU_DEP_2)
	v_add_nc_u32_e32 v8, s5, v0
	s_ashr_i32 s5, s12, 31
	v_lshlrev_b64 v[6:7], 3, v[6:7]
	s_delay_alu instid0(VALU_DEP_2) | instskip(NEXT) | instid1(VALU_DEP_2)
	v_lshlrev_b64 v[10:11], 3, v[8:9]
	v_add_co_u32 v3, vcc_lo, s3, v6
	s_delay_alu instid0(VALU_DEP_3) | instskip(NEXT) | instid1(VALU_DEP_2)
	v_add_co_ci_u32_e32 v7, vcc_lo, s4, v7, vcc_lo
	v_add_co_u32 v6, vcc_lo, v3, v10
	s_delay_alu instid0(VALU_DEP_2) | instskip(SKIP_3) | instid1(VALU_DEP_1)
	v_add_co_ci_u32_e32 v7, vcc_lo, v7, v11, vcc_lo
	v_mad_u64_u32 v[10:11], null, v0, s12, 0
	global_load_b64 v[6:7], v[6:7], off
	v_mov_b32_e32 v3, v11
	v_mad_u64_u32 v[11:12], null, v0, s5, v[3:4]
	v_mov_b32_e32 v3, v9
	s_mov_b32 s5, 0
	s_delay_alu instid0(VALU_DEP_2) | instskip(NEXT) | instid1(VALU_DEP_2)
	v_lshlrev_b64 v[8:9], 3, v[10:11]
	v_lshlrev_b64 v[10:11], 3, v[2:3]
	s_delay_alu instid0(VALU_DEP_2) | instskip(NEXT) | instid1(VALU_DEP_3)
	v_add_co_u32 v3, vcc_lo, s6, v8
	v_add_co_ci_u32_e32 v9, vcc_lo, s7, v9, vcc_lo
	s_delay_alu instid0(VALU_DEP_2) | instskip(NEXT) | instid1(VALU_DEP_2)
	v_add_co_u32 v8, vcc_lo, v3, v10
	v_add_co_ci_u32_e32 v9, vcc_lo, v9, v11, vcc_lo
	s_waitcnt vmcnt(0)
	v_mul_f64 v[6:7], v[6:7], -v[4:5]
	global_store_b64 v[8:9], v[6:7], off
.LBB30_15:
	s_and_not1_b32 vcc_lo, exec_lo, s5
	s_cbranch_vccnz .LBB30_17
; %bb.16:
	v_mad_u64_u32 v[6:7], null, v0, s12, 0
	v_mad_u64_u32 v[8:9], null, v2, s11, 0
	s_ashr_i32 s5, s12, 31
	s_delay_alu instid0(VALU_DEP_2) | instskip(NEXT) | instid1(VALU_DEP_2)
	v_mov_b32_e32 v3, v7
	v_mov_b32_e32 v7, v9
	s_waitcnt vmcnt(0)
	s_delay_alu instid0(VALU_DEP_2) | instskip(SKIP_2) | instid1(VALU_DEP_1)
	v_mad_u64_u32 v[9:10], null, v0, s5, v[3:4]
	v_mov_b32_e32 v3, 0
	s_ashr_i32 s5, s11, 31
	v_mov_b32_e32 v12, v3
	v_mad_u64_u32 v[10:11], null, v2, s5, v[7:8]
	s_delay_alu instid0(VALU_DEP_4) | instskip(SKIP_3) | instid1(VALU_DEP_3)
	v_mov_b32_e32 v7, v9
	s_sub_i32 s5, s16, s17
	v_lshlrev_b64 v[13:14], 3, v[2:3]
	v_add_nc_u32_e32 v11, s5, v0
	v_lshlrev_b64 v[6:7], 3, v[6:7]
	v_mov_b32_e32 v9, v10
	s_delay_alu instid0(VALU_DEP_3) | instskip(NEXT) | instid1(VALU_DEP_2)
	v_lshlrev_b64 v[10:11], 3, v[11:12]
	v_lshlrev_b64 v[8:9], 3, v[8:9]
	s_delay_alu instid0(VALU_DEP_4) | instskip(SKIP_1) | instid1(VALU_DEP_3)
	v_add_co_u32 v3, vcc_lo, s6, v6
	v_add_co_ci_u32_e32 v7, vcc_lo, s7, v7, vcc_lo
	v_add_co_u32 v8, vcc_lo, s3, v8
	s_delay_alu instid0(VALU_DEP_4) | instskip(NEXT) | instid1(VALU_DEP_4)
	v_add_co_ci_u32_e32 v9, vcc_lo, s4, v9, vcc_lo
	v_add_co_u32 v6, vcc_lo, v3, v13
	s_delay_alu instid0(VALU_DEP_4) | instskip(NEXT) | instid1(VALU_DEP_4)
	v_add_co_ci_u32_e32 v7, vcc_lo, v7, v14, vcc_lo
	v_add_co_u32 v8, vcc_lo, v8, v10
	s_delay_alu instid0(VALU_DEP_4) | instskip(SKIP_4) | instid1(VALU_DEP_1)
	v_add_co_ci_u32_e32 v9, vcc_lo, v9, v11, vcc_lo
	global_load_b64 v[10:11], v[6:7], off
	global_load_b64 v[8:9], v[8:9], off
	s_waitcnt vmcnt(0)
	v_add_f64 v[8:9], v[10:11], v[8:9]
	v_mul_f64 v[3:4], v[8:9], -v[4:5]
	global_store_b64 v[6:7], v[3:4], off
.LBB30_17:
	s_or_b32 exec_lo, exec_lo, s0
	s_mov_b32 s0, 0
.LBB30_18:
	s_delay_alu instid0(SALU_CYCLE_1)
	s_and_not1_b32 vcc_lo, exec_lo, s0
	s_cbranch_vccnz .LBB30_34
; %bb.19:
	s_mov_b32 s0, exec_lo
	v_cmpx_ge_u32_e64 v2, v0
	s_xor_b32 s0, exec_lo, s0
	s_cbranch_execz .LBB30_21
; %bb.20:
	s_waitcnt vmcnt(0)
	v_mad_u64_u32 v[4:5], null, v0, s12, 0
	v_mov_b32_e32 v3, 0
	s_ashr_i32 s5, s12, 31
	s_delay_alu instid0(VALU_DEP_2) | instskip(NEXT) | instid1(VALU_DEP_1)
	v_mov_b32_e32 v1, v5
	v_mad_u64_u32 v[5:6], null, v0, s5, v[1:2]
	s_delay_alu instid0(VALU_DEP_1) | instskip(SKIP_2) | instid1(VALU_DEP_3)
	v_lshlrev_b64 v[0:1], 3, v[4:5]
	v_lshlrev_b64 v[4:5], 3, v[2:3]
	v_mov_b32_e32 v2, v3
	v_add_co_u32 v0, vcc_lo, s6, v0
	s_delay_alu instid0(VALU_DEP_4) | instskip(NEXT) | instid1(VALU_DEP_2)
	v_add_co_ci_u32_e32 v1, vcc_lo, s7, v1, vcc_lo
	v_add_co_u32 v0, vcc_lo, v0, v4
	s_delay_alu instid0(VALU_DEP_2)
	v_add_co_ci_u32_e32 v1, vcc_lo, v1, v5, vcc_lo
	global_store_b64 v[0:1], v[2:3], off
                                        ; implicit-def: $vgpr0_vgpr1
                                        ; implicit-def: $vgpr2_vgpr3
.LBB30_21:
	s_and_not1_saveexec_b32 s0, s0
	s_cbranch_execz .LBB30_33
; %bb.22:
	v_lshlrev_b64 v[6:7], 3, v[0:1]
	v_cndmask_b32_e64 v1, 0, 1, s2
	s_cmpk_lg_i32 s1, 0xb5
	s_mov_b32 s1, -1
	s_delay_alu instid0(VALU_DEP_2)
	v_add_co_u32 v3, vcc_lo, s13, v6
	s_waitcnt vmcnt(0)
	v_add_co_ci_u32_e32 v4, vcc_lo, s14, v7, vcc_lo
	v_cmp_ne_u32_e32 vcc_lo, 1, v1
	global_load_b64 v[4:5], v[3:4], off
	v_mov_b32_e32 v3, 0
	s_cbranch_scc0 .LBB30_28
; %bb.23:
	s_and_b32 vcc_lo, exec_lo, vcc_lo
	s_cbranch_vccnz .LBB30_25
; %bb.24:
	v_mad_u64_u32 v[8:9], null, v0, s11, 0
	s_ashr_i32 s1, s11, 31
	v_mad_u64_u32 v[12:13], null, v0, s12, 0
	s_delay_alu instid0(VALU_DEP_2) | instskip(NEXT) | instid1(VALU_DEP_1)
	v_mov_b32_e32 v1, v9
	v_mad_u64_u32 v[9:10], null, v0, s1, v[1:2]
	v_lshlrev_b64 v[10:11], 3, v[2:3]
	s_ashr_i32 s1, s12, 31
	s_delay_alu instid0(VALU_DEP_2) | instskip(NEXT) | instid1(VALU_DEP_1)
	v_lshlrev_b64 v[8:9], 3, v[8:9]
	v_add_co_u32 v1, vcc_lo, s3, v8
	s_delay_alu instid0(VALU_DEP_2) | instskip(NEXT) | instid1(VALU_DEP_2)
	v_add_co_ci_u32_e32 v9, vcc_lo, s4, v9, vcc_lo
	v_add_co_u32 v8, vcc_lo, v1, v10
	s_delay_alu instid0(VALU_DEP_2) | instskip(SKIP_4) | instid1(VALU_DEP_1)
	v_add_co_ci_u32_e32 v9, vcc_lo, v9, v11, vcc_lo
	v_mov_b32_e32 v1, v13
	global_load_b64 v[8:9], v[8:9], off
	v_mad_u64_u32 v[13:14], null, v0, s1, v[1:2]
	s_mov_b32 s1, 0
	v_lshlrev_b64 v[12:13], 3, v[12:13]
	s_delay_alu instid0(VALU_DEP_1) | instskip(NEXT) | instid1(VALU_DEP_2)
	v_add_co_u32 v1, vcc_lo, s6, v12
	v_add_co_ci_u32_e32 v12, vcc_lo, s7, v13, vcc_lo
	s_delay_alu instid0(VALU_DEP_2) | instskip(NEXT) | instid1(VALU_DEP_2)
	v_add_co_u32 v10, vcc_lo, v1, v10
	v_add_co_ci_u32_e32 v11, vcc_lo, v12, v11, vcc_lo
	s_waitcnt vmcnt(0)
	v_mul_f64 v[8:9], v[8:9], -v[4:5]
	global_store_b64 v[10:11], v[8:9], off
.LBB30_25:
	s_and_not1_b32 vcc_lo, exec_lo, s1
	s_cbranch_vccnz .LBB30_27
; %bb.26:
	v_mad_u64_u32 v[8:9], null, v0, s12, 0
	v_mad_u64_u32 v[10:11], null, v0, s11, 0
	s_ashr_i32 s1, s12, 31
	s_delay_alu instid0(VALU_DEP_2) | instskip(NEXT) | instid1(VALU_DEP_2)
	v_mov_b32_e32 v1, v9
	v_mov_b32_e32 v9, v11
	s_delay_alu instid0(VALU_DEP_2)
	v_mad_u64_u32 v[11:12], null, v0, s1, v[1:2]
	s_ashr_i32 s1, s11, 31
	s_delay_alu instid0(VALU_DEP_2) | instid1(SALU_CYCLE_1)
	v_mad_u64_u32 v[12:13], null, v0, s1, v[9:10]
	s_delay_alu instid0(VALU_DEP_2) | instskip(NEXT) | instid1(VALU_DEP_2)
	v_mov_b32_e32 v9, v11
	v_mov_b32_e32 v11, v12
	s_delay_alu instid0(VALU_DEP_2) | instskip(SKIP_1) | instid1(VALU_DEP_3)
	v_lshlrev_b64 v[8:9], 3, v[8:9]
	v_lshlrev_b64 v[12:13], 3, v[2:3]
	;; [unrolled: 1-line block ×3, first 2 shown]
	s_delay_alu instid0(VALU_DEP_3) | instskip(NEXT) | instid1(VALU_DEP_4)
	v_add_co_u32 v1, vcc_lo, s6, v8
	v_add_co_ci_u32_e32 v9, vcc_lo, s7, v9, vcc_lo
	s_delay_alu instid0(VALU_DEP_3) | instskip(NEXT) | instid1(VALU_DEP_4)
	v_add_co_u32 v10, vcc_lo, s3, v10
	v_add_co_ci_u32_e32 v11, vcc_lo, s4, v11, vcc_lo
	s_delay_alu instid0(VALU_DEP_4) | instskip(NEXT) | instid1(VALU_DEP_4)
	v_add_co_u32 v8, vcc_lo, v1, v12
	v_add_co_ci_u32_e32 v9, vcc_lo, v9, v13, vcc_lo
	s_delay_alu instid0(VALU_DEP_4) | instskip(NEXT) | instid1(VALU_DEP_4)
	v_add_co_u32 v10, vcc_lo, v10, v12
	v_add_co_ci_u32_e32 v11, vcc_lo, v11, v13, vcc_lo
	global_load_b64 v[12:13], v[8:9], off
	global_load_b64 v[10:11], v[10:11], off
	s_waitcnt vmcnt(0)
	v_add_f64 v[10:11], v[12:13], v[10:11]
	s_delay_alu instid0(VALU_DEP_1)
	v_mul_f64 v[10:11], v[10:11], -v[4:5]
	global_store_b64 v[8:9], v[10:11], off
.LBB30_27:
	s_mov_b32 s1, 0
.LBB30_28:
	s_delay_alu instid0(SALU_CYCLE_1)
	s_and_not1_b32 vcc_lo, exec_lo, s1
	s_cbranch_vccnz .LBB30_33
; %bb.29:
	s_delay_alu instid0(VALU_DEP_1)
	v_lshlrev_b64 v[8:9], 3, v[2:3]
	s_and_not1_b32 vcc_lo, exec_lo, s2
	s_mov_b32 s1, -1
	s_cbranch_vccnz .LBB30_31
; %bb.30:
	v_mad_u64_u32 v[10:11], null, v2, s11, 0
	s_ashr_i32 s1, s11, 31
	s_delay_alu instid0(VALU_DEP_1) | instskip(NEXT) | instid1(VALU_DEP_1)
	v_mov_b32_e32 v1, v11
	v_mad_u64_u32 v[11:12], null, v2, s1, v[1:2]
	v_mad_u64_u32 v[12:13], null, v0, s12, 0
	s_ashr_i32 s1, s12, 31
	s_delay_alu instid0(VALU_DEP_2) | instskip(NEXT) | instid1(VALU_DEP_1)
	v_lshlrev_b64 v[10:11], 3, v[10:11]
	v_add_co_u32 v1, vcc_lo, s3, v10
	s_delay_alu instid0(VALU_DEP_2) | instskip(NEXT) | instid1(VALU_DEP_2)
	v_add_co_ci_u32_e32 v3, vcc_lo, s4, v11, vcc_lo
	v_add_co_u32 v10, vcc_lo, v1, v6
	s_delay_alu instid0(VALU_DEP_2) | instskip(SKIP_4) | instid1(VALU_DEP_1)
	v_add_co_ci_u32_e32 v11, vcc_lo, v3, v7, vcc_lo
	v_mov_b32_e32 v1, v13
	global_load_b64 v[10:11], v[10:11], off
	v_mad_u64_u32 v[13:14], null, v0, s1, v[1:2]
	s_mov_b32 s1, 0
	v_lshlrev_b64 v[12:13], 3, v[12:13]
	s_delay_alu instid0(VALU_DEP_1) | instskip(NEXT) | instid1(VALU_DEP_2)
	v_add_co_u32 v1, vcc_lo, s6, v12
	v_add_co_ci_u32_e32 v3, vcc_lo, s7, v13, vcc_lo
	s_delay_alu instid0(VALU_DEP_2) | instskip(NEXT) | instid1(VALU_DEP_2)
	v_add_co_u32 v12, vcc_lo, v1, v8
	v_add_co_ci_u32_e32 v13, vcc_lo, v3, v9, vcc_lo
	s_waitcnt vmcnt(0)
	v_mul_f64 v[10:11], v[10:11], -v[4:5]
	global_store_b64 v[12:13], v[10:11], off
.LBB30_31:
	s_and_not1_b32 vcc_lo, exec_lo, s1
	s_cbranch_vccnz .LBB30_33
; %bb.32:
	v_mad_u64_u32 v[10:11], null, v0, s12, 0
	v_mad_u64_u32 v[12:13], null, v2, s11, 0
	s_ashr_i32 s1, s12, 31
	s_delay_alu instid0(VALU_DEP_2) | instskip(NEXT) | instid1(VALU_DEP_2)
	v_mov_b32_e32 v1, v11
	v_mov_b32_e32 v3, v13
	s_delay_alu instid0(VALU_DEP_2) | instskip(SKIP_2) | instid1(VALU_DEP_2)
	v_mad_u64_u32 v[13:14], null, v0, s1, v[1:2]
	s_ashr_i32 s1, s11, 31
	s_waitcnt vmcnt(0)
	v_mad_u64_u32 v[0:1], null, v2, s1, v[3:4]
	s_delay_alu instid0(VALU_DEP_2) | instskip(NEXT) | instid1(VALU_DEP_2)
	v_mov_b32_e32 v11, v13
	v_mov_b32_e32 v13, v0
	s_delay_alu instid0(VALU_DEP_2) | instskip(NEXT) | instid1(VALU_DEP_2)
	v_lshlrev_b64 v[0:1], 3, v[10:11]
	v_lshlrev_b64 v[2:3], 3, v[12:13]
	s_delay_alu instid0(VALU_DEP_2) | instskip(NEXT) | instid1(VALU_DEP_3)
	v_add_co_u32 v0, vcc_lo, s6, v0
	v_add_co_ci_u32_e32 v1, vcc_lo, s7, v1, vcc_lo
	s_delay_alu instid0(VALU_DEP_3) | instskip(NEXT) | instid1(VALU_DEP_4)
	v_add_co_u32 v2, vcc_lo, s3, v2
	v_add_co_ci_u32_e32 v3, vcc_lo, s4, v3, vcc_lo
	s_delay_alu instid0(VALU_DEP_4) | instskip(NEXT) | instid1(VALU_DEP_4)
	v_add_co_u32 v0, vcc_lo, v0, v8
	v_add_co_ci_u32_e32 v1, vcc_lo, v1, v9, vcc_lo
	s_delay_alu instid0(VALU_DEP_4) | instskip(NEXT) | instid1(VALU_DEP_4)
	v_add_co_u32 v2, vcc_lo, v2, v6
	v_add_co_ci_u32_e32 v3, vcc_lo, v3, v7, vcc_lo
	global_load_b64 v[6:7], v[0:1], off
	global_load_b64 v[2:3], v[2:3], off
	s_waitcnt vmcnt(0)
	v_add_f64 v[2:3], v[6:7], v[2:3]
	s_delay_alu instid0(VALU_DEP_1)
	v_mul_f64 v[2:3], v[2:3], -v[4:5]
	global_store_b64 v[0:1], v[2:3], off
.LBB30_33:
	s_or_b32 exec_lo, exec_lo, s0
                                        ; implicit-def: $vgpr0_vgpr1
.LBB30_34:
	s_and_not1_saveexec_b32 s0, s18
	s_cbranch_execz .LBB30_36
; %bb.35:
	s_waitcnt vmcnt(0)
	v_mad_u64_u32 v[5:6], null, v0, s12, 0
	s_ashr_i32 s0, s12, 31
	s_delay_alu instid0(VALU_DEP_1) | instid1(SALU_CYCLE_1)
	v_mad_u64_u32 v[7:8], null, v0, s0, v[6:7]
	s_delay_alu instid0(VALU_DEP_1) | instskip(NEXT) | instid1(VALU_DEP_1)
	v_dual_mov_b32 v1, 0 :: v_dual_mov_b32 v6, v7
	v_lshlrev_b64 v[1:2], 3, v[0:1]
	s_delay_alu instid0(VALU_DEP_2) | instskip(NEXT) | instid1(VALU_DEP_2)
	v_lshlrev_b64 v[5:6], 3, v[5:6]
	v_add_co_u32 v3, vcc_lo, s13, v1
	s_delay_alu instid0(VALU_DEP_3) | instskip(NEXT) | instid1(VALU_DEP_3)
	v_add_co_ci_u32_e32 v4, vcc_lo, s14, v2, vcc_lo
	v_add_co_u32 v0, vcc_lo, s6, v5
	s_delay_alu instid0(VALU_DEP_4)
	v_add_co_ci_u32_e32 v5, vcc_lo, s7, v6, vcc_lo
	global_load_b64 v[3:4], v[3:4], off
	v_add_co_u32 v0, vcc_lo, v0, v1
	v_add_co_ci_u32_e32 v1, vcc_lo, v5, v2, vcc_lo
	s_waitcnt vmcnt(0)
	global_store_b64 v[0:1], v[3:4], off
.LBB30_36:
	s_nop 0
	s_sendmsg sendmsg(MSG_DEALLOC_VGPRS)
	s_endpgm
	.section	.rodata,"a",@progbits
	.p2align	6, 0x0
	.amdhsa_kernel _ZN9rocsolver6v33100L14set_triangularIdPdTnNSt9enable_ifIXnt18rocblas_is_complexIT_EEiE4typeELi0EEEviiT0_iilPS4_lS8_il15rocblas_direct_15rocblas_storev_b
		.amdhsa_group_segment_fixed_size 0
		.amdhsa_private_segment_fixed_size 0
		.amdhsa_kernarg_size 344
		.amdhsa_user_sgpr_count 13
		.amdhsa_user_sgpr_dispatch_ptr 0
		.amdhsa_user_sgpr_queue_ptr 0
		.amdhsa_user_sgpr_kernarg_segment_ptr 1
		.amdhsa_user_sgpr_dispatch_id 0
		.amdhsa_user_sgpr_private_segment_size 0
		.amdhsa_wavefront_size32 1
		.amdhsa_uses_dynamic_stack 0
		.amdhsa_enable_private_segment 0
		.amdhsa_system_sgpr_workgroup_id_x 1
		.amdhsa_system_sgpr_workgroup_id_y 1
		.amdhsa_system_sgpr_workgroup_id_z 1
		.amdhsa_system_sgpr_workgroup_info 0
		.amdhsa_system_vgpr_workitem_id 1
		.amdhsa_next_free_vgpr 15
		.amdhsa_next_free_sgpr 22
		.amdhsa_reserve_vcc 1
		.amdhsa_float_round_mode_32 0
		.amdhsa_float_round_mode_16_64 0
		.amdhsa_float_denorm_mode_32 3
		.amdhsa_float_denorm_mode_16_64 3
		.amdhsa_dx10_clamp 1
		.amdhsa_ieee_mode 1
		.amdhsa_fp16_overflow 0
		.amdhsa_workgroup_processor_mode 1
		.amdhsa_memory_ordered 1
		.amdhsa_forward_progress 0
		.amdhsa_shared_vgpr_count 0
		.amdhsa_exception_fp_ieee_invalid_op 0
		.amdhsa_exception_fp_denorm_src 0
		.amdhsa_exception_fp_ieee_div_zero 0
		.amdhsa_exception_fp_ieee_overflow 0
		.amdhsa_exception_fp_ieee_underflow 0
		.amdhsa_exception_fp_ieee_inexact 0
		.amdhsa_exception_int_div_zero 0
	.end_amdhsa_kernel
	.section	.text._ZN9rocsolver6v33100L14set_triangularIdPdTnNSt9enable_ifIXnt18rocblas_is_complexIT_EEiE4typeELi0EEEviiT0_iilPS4_lS8_il15rocblas_direct_15rocblas_storev_b,"axG",@progbits,_ZN9rocsolver6v33100L14set_triangularIdPdTnNSt9enable_ifIXnt18rocblas_is_complexIT_EEiE4typeELi0EEEviiT0_iilPS4_lS8_il15rocblas_direct_15rocblas_storev_b,comdat
.Lfunc_end30:
	.size	_ZN9rocsolver6v33100L14set_triangularIdPdTnNSt9enable_ifIXnt18rocblas_is_complexIT_EEiE4typeELi0EEEviiT0_iilPS4_lS8_il15rocblas_direct_15rocblas_storev_b, .Lfunc_end30-_ZN9rocsolver6v33100L14set_triangularIdPdTnNSt9enable_ifIXnt18rocblas_is_complexIT_EEiE4typeELi0EEEviiT0_iilPS4_lS8_il15rocblas_direct_15rocblas_storev_b
                                        ; -- End function
	.section	.AMDGPU.csdata,"",@progbits
; Kernel info:
; codeLenInByte = 2584
; NumSgprs: 24
; NumVgprs: 15
; ScratchSize: 0
; MemoryBound: 0
; FloatMode: 240
; IeeeMode: 1
; LDSByteSize: 0 bytes/workgroup (compile time only)
; SGPRBlocks: 2
; VGPRBlocks: 1
; NumSGPRsForWavesPerEU: 24
; NumVGPRsForWavesPerEU: 15
; Occupancy: 16
; WaveLimiterHint : 0
; COMPUTE_PGM_RSRC2:SCRATCH_EN: 0
; COMPUTE_PGM_RSRC2:USER_SGPR: 13
; COMPUTE_PGM_RSRC2:TRAP_HANDLER: 0
; COMPUTE_PGM_RSRC2:TGID_X_EN: 1
; COMPUTE_PGM_RSRC2:TGID_Y_EN: 1
; COMPUTE_PGM_RSRC2:TGID_Z_EN: 1
; COMPUTE_PGM_RSRC2:TIDIG_COMP_CNT: 1
	.section	.text._ZN9rocsolver6v33100L7set_tauIdEEviPT_l,"axG",@progbits,_ZN9rocsolver6v33100L7set_tauIdEEviPT_l,comdat
	.globl	_ZN9rocsolver6v33100L7set_tauIdEEviPT_l ; -- Begin function _ZN9rocsolver6v33100L7set_tauIdEEviPT_l
	.p2align	8
	.type	_ZN9rocsolver6v33100L7set_tauIdEEviPT_l,@function
_ZN9rocsolver6v33100L7set_tauIdEEviPT_l: ; @_ZN9rocsolver6v33100L7set_tauIdEEviPT_l
; %bb.0:
	s_clause 0x1
	s_load_b32 s2, s[0:1], 0x24
	s_load_b32 s3, s[0:1], 0x0
	s_waitcnt lgkmcnt(0)
	s_and_b32 s2, s2, 0xffff
	s_delay_alu instid0(SALU_CYCLE_1) | instskip(SKIP_1) | instid1(VALU_DEP_1)
	v_mad_u64_u32 v[1:2], null, s14, s2, v[0:1]
	s_mov_b32 s2, exec_lo
	v_cmpx_gt_u32_e64 s3, v1
	s_cbranch_execz .LBB31_2
; %bb.1:
	s_load_b128 s[0:3], s[0:1], 0x8
	v_mov_b32_e32 v2, 0
	s_delay_alu instid0(VALU_DEP_1)
	v_lshlrev_b64 v[0:1], 3, v[1:2]
	s_waitcnt lgkmcnt(0)
	s_mul_i32 s3, s15, s3
	s_mul_hi_u32 s4, s15, s2
	s_mul_i32 s2, s15, s2
	s_add_i32 s3, s4, s3
	s_delay_alu instid0(SALU_CYCLE_1) | instskip(NEXT) | instid1(SALU_CYCLE_1)
	s_lshl_b64 s[2:3], s[2:3], 3
	s_add_u32 s0, s0, s2
	s_addc_u32 s1, s1, s3
	v_add_co_u32 v0, vcc_lo, s0, v0
	v_add_co_ci_u32_e32 v1, vcc_lo, s1, v1, vcc_lo
	global_load_b64 v[2:3], v[0:1], off
	s_waitcnt vmcnt(0)
	v_xor_b32_e32 v3, 0x80000000, v3
	global_store_b64 v[0:1], v[2:3], off
.LBB31_2:
	s_nop 0
	s_sendmsg sendmsg(MSG_DEALLOC_VGPRS)
	s_endpgm
	.section	.rodata,"a",@progbits
	.p2align	6, 0x0
	.amdhsa_kernel _ZN9rocsolver6v33100L7set_tauIdEEviPT_l
		.amdhsa_group_segment_fixed_size 0
		.amdhsa_private_segment_fixed_size 0
		.amdhsa_kernarg_size 280
		.amdhsa_user_sgpr_count 14
		.amdhsa_user_sgpr_dispatch_ptr 0
		.amdhsa_user_sgpr_queue_ptr 0
		.amdhsa_user_sgpr_kernarg_segment_ptr 1
		.amdhsa_user_sgpr_dispatch_id 0
		.amdhsa_user_sgpr_private_segment_size 0
		.amdhsa_wavefront_size32 1
		.amdhsa_uses_dynamic_stack 0
		.amdhsa_enable_private_segment 0
		.amdhsa_system_sgpr_workgroup_id_x 1
		.amdhsa_system_sgpr_workgroup_id_y 1
		.amdhsa_system_sgpr_workgroup_id_z 0
		.amdhsa_system_sgpr_workgroup_info 0
		.amdhsa_system_vgpr_workitem_id 0
		.amdhsa_next_free_vgpr 4
		.amdhsa_next_free_sgpr 16
		.amdhsa_reserve_vcc 1
		.amdhsa_float_round_mode_32 0
		.amdhsa_float_round_mode_16_64 0
		.amdhsa_float_denorm_mode_32 3
		.amdhsa_float_denorm_mode_16_64 3
		.amdhsa_dx10_clamp 1
		.amdhsa_ieee_mode 1
		.amdhsa_fp16_overflow 0
		.amdhsa_workgroup_processor_mode 1
		.amdhsa_memory_ordered 1
		.amdhsa_forward_progress 0
		.amdhsa_shared_vgpr_count 0
		.amdhsa_exception_fp_ieee_invalid_op 0
		.amdhsa_exception_fp_denorm_src 0
		.amdhsa_exception_fp_ieee_div_zero 0
		.amdhsa_exception_fp_ieee_overflow 0
		.amdhsa_exception_fp_ieee_underflow 0
		.amdhsa_exception_fp_ieee_inexact 0
		.amdhsa_exception_int_div_zero 0
	.end_amdhsa_kernel
	.section	.text._ZN9rocsolver6v33100L7set_tauIdEEviPT_l,"axG",@progbits,_ZN9rocsolver6v33100L7set_tauIdEEviPT_l,comdat
.Lfunc_end31:
	.size	_ZN9rocsolver6v33100L7set_tauIdEEviPT_l, .Lfunc_end31-_ZN9rocsolver6v33100L7set_tauIdEEviPT_l
                                        ; -- End function
	.section	.AMDGPU.csdata,"",@progbits
; Kernel info:
; codeLenInByte = 172
; NumSgprs: 18
; NumVgprs: 4
; ScratchSize: 0
; MemoryBound: 0
; FloatMode: 240
; IeeeMode: 1
; LDSByteSize: 0 bytes/workgroup (compile time only)
; SGPRBlocks: 2
; VGPRBlocks: 0
; NumSGPRsForWavesPerEU: 18
; NumVGPRsForWavesPerEU: 4
; Occupancy: 16
; WaveLimiterHint : 0
; COMPUTE_PGM_RSRC2:SCRATCH_EN: 0
; COMPUTE_PGM_RSRC2:USER_SGPR: 14
; COMPUTE_PGM_RSRC2:TRAP_HANDLER: 0
; COMPUTE_PGM_RSRC2:TGID_X_EN: 1
; COMPUTE_PGM_RSRC2:TGID_Y_EN: 1
; COMPUTE_PGM_RSRC2:TGID_Z_EN: 0
; COMPUTE_PGM_RSRC2:TIDIG_COMP_CNT: 0
	.section	.text._ZN9rocsolver6v33100L20larft_kernel_forwardIdPdEEv15rocblas_storev_iiT0_iilPT_lS6_il,"axG",@progbits,_ZN9rocsolver6v33100L20larft_kernel_forwardIdPdEEv15rocblas_storev_iiT0_iilPT_lS6_il,comdat
	.globl	_ZN9rocsolver6v33100L20larft_kernel_forwardIdPdEEv15rocblas_storev_iiT0_iilPT_lS6_il ; -- Begin function _ZN9rocsolver6v33100L20larft_kernel_forwardIdPdEEv15rocblas_storev_iiT0_iilPT_lS6_il
	.p2align	8
	.type	_ZN9rocsolver6v33100L20larft_kernel_forwardIdPdEEv15rocblas_storev_iiT0_iilPT_lS6_il,@function
_ZN9rocsolver6v33100L20larft_kernel_forwardIdPdEEv15rocblas_storev_iiT0_iilPT_lS6_il: ; @_ZN9rocsolver6v33100L20larft_kernel_forwardIdPdEEv15rocblas_storev_iiT0_iilPT_lS6_il
; %bb.0:
	s_clause 0x4
	s_load_b64 s[20:21], s[0:1], 0x48
	s_load_b128 s[16:19], s[0:1], 0x0
	s_load_b32 s13, s[0:1], 0x5c
	s_load_b256 s[4:11], s[0:1], 0x20
	s_load_b32 s3, s[0:1], 0x40
	s_ashr_i32 s12, s15, 31
	v_lshlrev_b32_e32 v8, 3, v0
	s_waitcnt lgkmcnt(0)
	s_mul_i32 s2, s15, s21
	s_mul_hi_u32 s14, s15, s20
	s_mul_i32 s19, s12, s20
	s_add_i32 s2, s14, s2
	s_mul_i32 s20, s15, s20
	s_add_i32 s21, s2, s19
	v_cmp_gt_i32_e64 s2, s18, v0
	s_lshl_b64 s[20:21], s[20:21], 3
	s_and_b32 s19, s13, 0xffff
	s_add_u32 s24, s10, s20
	s_addc_u32 s25, s11, s21
	s_and_saveexec_b32 s10, s2
	s_cbranch_execz .LBB32_5
; %bb.1:
	v_add_nc_u32_e32 v1, 8, v8
	s_lshl_b32 s13, s18, 3
	v_mov_b32_e32 v5, v0
	s_add_i32 s14, s13, 8
	s_add_i32 s20, s3, 1
	v_mul_lo_u32 v3, s18, v1
	v_mad_u64_u32 v[1:2], null, v0, s3, v[0:1]
	s_mov_b32 s11, 0
	s_mul_i32 s14, s14, s19
	s_mul_i32 s20, s20, s19
	s_delay_alu instid0(VALU_DEP_2)
	v_add3_u32 v4, v3, v8, 0
	.p2align	6
.LBB32_2:                               ; =>This Loop Header: Depth=1
                                        ;     Child Loop BB32_3 Depth 2
	s_delay_alu instid0(VALU_DEP_2) | instskip(NEXT) | instid1(VALU_DEP_2)
	v_mov_b32_e32 v2, v1
	v_dual_mov_b32 v6, v4 :: v_dual_mov_b32 v7, v5
	s_mov_b32 s21, 0
	.p2align	6
.LBB32_3:                               ;   Parent Loop BB32_2 Depth=1
                                        ; =>  This Inner Loop Header: Depth=2
	s_delay_alu instid0(VALU_DEP_2) | instskip(NEXT) | instid1(VALU_DEP_2)
	v_ashrrev_i32_e32 v3, 31, v2
	v_add_nc_u32_e32 v7, 1, v7
	s_delay_alu instid0(VALU_DEP_2) | instskip(SKIP_1) | instid1(VALU_DEP_2)
	v_lshlrev_b64 v[9:10], 3, v[2:3]
	v_add_nc_u32_e32 v2, s3, v2
	v_add_co_u32 v9, vcc_lo, s24, v9
	s_delay_alu instid0(VALU_DEP_3)
	v_add_co_ci_u32_e32 v10, vcc_lo, s25, v10, vcc_lo
	v_cmp_le_i32_e32 vcc_lo, s18, v7
	global_load_b64 v[9:10], v[9:10], off
	s_or_b32 s21, vcc_lo, s21
	s_waitcnt vmcnt(0)
	ds_store_b64 v6, v[9:10]
	v_add_nc_u32_e32 v6, s13, v6
	s_and_not1_b32 exec_lo, exec_lo, s21
	s_cbranch_execnz .LBB32_3
; %bb.4:                                ;   in Loop: Header=BB32_2 Depth=1
	s_or_b32 exec_lo, exec_lo, s21
	v_add_nc_u32_e32 v5, s19, v5
	v_add_nc_u32_e32 v4, s14, v4
	;; [unrolled: 1-line block ×3, first 2 shown]
	s_delay_alu instid0(VALU_DEP_3) | instskip(SKIP_1) | instid1(SALU_CYCLE_1)
	v_cmp_le_i32_e32 vcc_lo, s18, v5
	s_or_b32 s11, vcc_lo, s11
	s_and_not1_b32 exec_lo, exec_lo, s11
	s_cbranch_execnz .LBB32_2
.LBB32_5:
	s_or_b32 exec_lo, exec_lo, s10
	s_cmp_lt_i32 s18, 2
	s_waitcnt lgkmcnt(0)
	s_barrier
	buffer_gl0_inv
	s_cbranch_scc1 .LBB32_30
; %bb.6:
	s_load_b128 s[20:23], s[0:1], 0x10
	s_mul_i32 s1, s15, s9
	s_mul_hi_u32 s10, s15, s8
	s_mul_i32 s11, s12, s8
	s_add_i32 s1, s10, s1
	s_mul_i32 s0, s15, s8
	s_add_i32 s1, s1, s11
	s_mul_i32 s11, s5, s15
	s_lshl_b64 s[0:1], s[0:1], 3
	s_mul_i32 s12, s4, s12
	s_mul_hi_u32 s10, s4, s15
	v_add_nc_u32_e32 v3, 8, v8
	v_add_nc_u32_e32 v11, 0, v8
	s_mov_b32 s9, 0
	s_mov_b32 s8, 1
	s_delay_alu instid0(VALU_DEP_2)
	v_mul_lo_u32 v3, s18, v3
	s_waitcnt lgkmcnt(0)
	s_ashr_i32 s5, s22, 31
	s_add_u32 s26, s6, s0
	s_addc_u32 s27, s7, s1
	s_lshl_b32 s28, s18, 3
	s_mul_i32 s0, s4, s15
	s_add_i32 s29, s28, 0
	s_cmpk_lg_i32 s16, 0xb5
	s_mov_b32 s4, s22
	s_cselect_b32 s16, -1, 0
	s_add_i32 s1, s10, s12
	s_mov_b32 s6, s23
	s_add_i32 s1, s1, s11
	v_mul_lo_u32 v9, v0, s23
	s_lshl_b64 s[0:1], s[0:1], 3
	v_add3_u32 v10, v3, v8, 0
	s_add_u32 s22, s0, 8
	s_addc_u32 s30, s1, 0
	s_lshl_b64 s[10:11], s[4:5], 3
	v_add_co_u32 v1, s4, s0, v8
	s_add_u32 s31, s20, s10
	s_addc_u32 s33, s21, s11
	s_ashr_i32 s7, s23, 31
	v_add_co_ci_u32_e64 v2, null, s1, 0, s4
	s_lshl_b32 s4, s23, 1
	s_lshl_b32 s34, s19, 3
	s_lshl_b64 s[6:7], s[6:7], 3
	s_add_u32 s0, s0, s10
	s_addc_u32 s1, s1, s11
	s_add_u32 s0, s0, s20
	s_addc_u32 s1, s1, s21
	;; [unrolled: 2-line block ×3, first 2 shown]
	s_add_i32 s36, s28, 8
	s_mul_i32 s35, s23, s19
	s_mul_i32 s36, s36, s19
	s_mov_b32 s10, s23
	s_branch .LBB32_8
.LBB32_7:                               ;   in Loop: Header=BB32_8 Depth=1
	s_or_b32 exec_lo, exec_lo, s0
	s_add_i32 s8, s8, 1
	s_add_u32 s22, s22, 8
	s_addc_u32 s30, s30, 0
	s_add_i32 s4, s4, s23
	s_add_u32 s20, s20, 8
	s_addc_u32 s21, s21, 0
	s_add_i32 s10, s10, s23
	s_cmp_eq_u32 s8, s18
	s_waitcnt lgkmcnt(0)
	s_barrier
	buffer_gl0_inv
	s_cbranch_scc1 .LBB32_30
.LBB32_8:                               ; =>This Loop Header: Depth=1
                                        ;     Child Loop BB32_12 Depth 2
                                        ;       Child Loop BB32_14 Depth 3
                                        ;     Child Loop BB32_21 Depth 2
                                        ;       Child Loop BB32_23 Depth 3
                                        ;     Child Loop BB32_27 Depth 2
                                        ;       Child Loop BB32_28 Depth 3
	s_mul_i32 s0, s8, s18
	s_not_b32 s38, s8
	s_lshl_b32 s0, s0, 3
	s_add_i32 s38, s38, s17
	s_add_i32 s37, s29, s0
	v_cmp_gt_u32_e64 s0, s8, v0
	s_and_b32 vcc_lo, exec_lo, s16
	s_mov_b32 s1, -1
	s_cbranch_vccz .LBB32_16
; %bb.9:                                ;   in Loop: Header=BB32_8 Depth=1
	s_delay_alu instid0(VALU_DEP_1)
	s_and_saveexec_b32 s11, s0
	s_cbranch_execz .LBB32_15
; %bb.10:                               ;   in Loop: Header=BB32_8 Depth=1
	s_ashr_i32 s5, s4, 31
	v_dual_mov_b32 v4, v2 :: v_dual_mov_b32 v3, v1
	s_lshl_b64 s[0:1], s[4:5], 3
	v_mov_b32_e32 v7, v0
	s_add_u32 s12, s31, s0
	s_addc_u32 s13, s33, s1
	s_cmp_gt_i32 s38, 0
	s_mov_b32 s39, 0
	s_cselect_b32 s5, -1, 0
	s_lshl_b64 s[0:1], s[8:9], 3
	s_delay_alu instid0(SALU_CYCLE_1)
	s_add_u32 s0, s26, s0
	s_addc_u32 s1, s27, s1
	s_load_b64 s[14:15], s[0:1], 0x0
	s_set_inst_prefetch_distance 0x1
	s_branch .LBB32_12
	.p2align	6
.LBB32_11:                              ;   in Loop: Header=BB32_12 Depth=2
	v_lshlrev_b32_e32 v14, 3, v7
	v_add_nc_u32_e32 v7, s19, v7
	v_add_co_u32 v3, s0, v3, s34
	s_delay_alu instid0(VALU_DEP_1) | instskip(NEXT) | instid1(VALU_DEP_4)
	v_add_co_ci_u32_e64 v4, s0, 0, v4, s0
	v_add_nc_u32_e32 v12, s37, v14
	s_delay_alu instid0(VALU_DEP_4)
	v_cmp_le_u32_e32 vcc_lo, s8, v7
	ds_load_b64 v[12:13], v12
	s_or_b32 s39, vcc_lo, s39
	s_waitcnt lgkmcnt(0)
	v_fma_f64 v[5:6], v[5:6], s[14:15], v[12:13]
	v_add_nc_u32_e32 v12, 0, v14
	ds_store_b64 v12, v[5:6]
	s_and_not1_b32 exec_lo, exec_lo, s39
	s_cbranch_execz .LBB32_15
.LBB32_12:                              ;   Parent Loop BB32_8 Depth=1
                                        ; =>  This Loop Header: Depth=2
                                        ;       Child Loop BB32_14 Depth 3
	v_mov_b32_e32 v5, 0
	v_mov_b32_e32 v6, 0
	s_and_not1_b32 vcc_lo, exec_lo, s5
	s_cbranch_vccnz .LBB32_11
; %bb.13:                               ;   in Loop: Header=BB32_12 Depth=2
	s_mov_b32 s40, 0
	s_mov_b64 s[0:1], s[12:13]
	.p2align	6
.LBB32_14:                              ;   Parent Loop BB32_8 Depth=1
                                        ;     Parent Loop BB32_12 Depth=2
                                        ; =>    This Inner Loop Header: Depth=3
	s_delay_alu instid0(SALU_CYCLE_1)
	v_add_co_u32 v12, vcc_lo, s0, v3
	v_add_co_ci_u32_e32 v13, vcc_lo, s1, v4, vcc_lo
	s_add_u32 s42, s0, s22
	s_addc_u32 s43, s1, s30
	s_add_i32 s40, s40, 1
	global_load_b64 v[12:13], v[12:13], off
	s_load_b64 s[42:43], s[42:43], 0x0
	s_add_u32 s0, s0, s6
	s_addc_u32 s1, s1, s7
	s_cmp_ge_i32 s40, s38
	s_waitcnt vmcnt(0) lgkmcnt(0)
	v_fma_f64 v[5:6], v[12:13], s[42:43], v[5:6]
	s_cbranch_scc0 .LBB32_14
	s_branch .LBB32_11
.LBB32_15:                              ;   in Loop: Header=BB32_8 Depth=1
	s_set_inst_prefetch_distance 0x2
	s_or_b32 exec_lo, exec_lo, s11
	s_mov_b32 s1, 0
.LBB32_16:                              ;   in Loop: Header=BB32_8 Depth=1
	s_delay_alu instid0(SALU_CYCLE_1)
	s_and_not1_b32 vcc_lo, exec_lo, s1
	s_cbranch_vccnz .LBB32_25
; %bb.17:                               ;   in Loop: Header=BB32_8 Depth=1
	s_mov_b32 s5, exec_lo
	v_cmpx_gt_u32_e64 s8, v0
	s_cbranch_execz .LBB32_24
; %bb.18:                               ;   in Loop: Header=BB32_8 Depth=1
	s_ashr_i32 s11, s10, 31
	v_dual_mov_b32 v3, v9 :: v_dual_mov_b32 v12, v0
	s_lshl_b64 s[0:1], s[10:11], 3
	s_mov_b32 s39, 0
	s_add_u32 s0, s20, s0
	s_addc_u32 s1, s21, s1
	s_cmp_gt_i32 s38, 0
	s_cselect_b32 s11, -1, 0
	s_lshl_b64 s[12:13], s[8:9], 3
	s_delay_alu instid0(SALU_CYCLE_1)
	s_add_u32 s12, s26, s12
	s_addc_u32 s13, s27, s13
	s_load_b64 s[12:13], s[12:13], 0x0
	s_set_inst_prefetch_distance 0x1
	s_branch .LBB32_21
	.p2align	6
.LBB32_19:                              ;   in Loop: Header=BB32_21 Depth=2
	v_mov_b32_e32 v4, 0
	v_mov_b32_e32 v5, 0
.LBB32_20:                              ;   in Loop: Header=BB32_21 Depth=2
	v_lshlrev_b32_e32 v13, 3, v12
	v_add_nc_u32_e32 v12, s19, v12
	v_add_nc_u32_e32 v3, s35, v3
	s_delay_alu instid0(VALU_DEP_3) | instskip(NEXT) | instid1(VALU_DEP_3)
	v_add_nc_u32_e32 v6, s37, v13
	v_cmp_le_u32_e32 vcc_lo, s8, v12
	ds_load_b64 v[6:7], v6
	s_or_b32 s39, vcc_lo, s39
	s_waitcnt lgkmcnt(0)
	v_fma_f64 v[4:5], v[4:5], s[12:13], v[6:7]
	v_add_nc_u32_e32 v6, 0, v13
	ds_store_b64 v6, v[4:5]
	s_and_not1_b32 exec_lo, exec_lo, s39
	s_cbranch_execz .LBB32_24
.LBB32_21:                              ;   Parent Loop BB32_8 Depth=1
                                        ; =>  This Loop Header: Depth=2
                                        ;       Child Loop BB32_23 Depth 3
	s_and_not1_b32 vcc_lo, exec_lo, s11
	s_cbranch_vccnz .LBB32_19
; %bb.22:                               ;   in Loop: Header=BB32_21 Depth=2
	v_ashrrev_i32_e32 v4, 31, v3
	s_mov_b32 s40, 0
	s_mov_b64 s[14:15], s[0:1]
	s_delay_alu instid0(VALU_DEP_1) | instskip(SKIP_2) | instid1(VALU_DEP_3)
	v_lshlrev_b64 v[6:7], 3, v[3:4]
	v_mov_b32_e32 v4, 0
	v_mov_b32_e32 v5, 0
	v_add_co_u32 v6, vcc_lo, s20, v6
	s_delay_alu instid0(VALU_DEP_4)
	v_add_co_ci_u32_e32 v7, vcc_lo, s21, v7, vcc_lo
.LBB32_23:                              ;   Parent Loop BB32_8 Depth=1
                                        ;     Parent Loop BB32_21 Depth=2
                                        ; =>    This Inner Loop Header: Depth=3
	global_load_b64 v[13:14], v[6:7], off
	s_load_b64 s[42:43], s[14:15], 0x0
	v_add_co_u32 v6, vcc_lo, v6, 8
	s_add_i32 s40, s40, 1
	v_add_co_ci_u32_e32 v7, vcc_lo, 0, v7, vcc_lo
	s_add_u32 s14, s14, 8
	s_addc_u32 s15, s15, 0
	s_cmp_ge_i32 s40, s38
	s_waitcnt vmcnt(0) lgkmcnt(0)
	v_fma_f64 v[4:5], v[13:14], s[42:43], v[4:5]
	s_cbranch_scc0 .LBB32_23
	s_branch .LBB32_20
.LBB32_24:                              ;   in Loop: Header=BB32_8 Depth=1
	s_set_inst_prefetch_distance 0x2
	s_or_b32 exec_lo, exec_lo, s5
.LBB32_25:                              ;   in Loop: Header=BB32_8 Depth=1
	s_delay_alu instid0(SALU_CYCLE_1)
	s_mov_b32 s0, exec_lo
	s_waitcnt lgkmcnt(0)
	s_barrier
	buffer_gl0_inv
	v_cmpx_gt_u32_e64 s8, v0
	s_cbranch_execz .LBB32_7
; %bb.26:                               ;   in Loop: Header=BB32_8 Depth=1
	v_dual_mov_b32 v5, v11 :: v_dual_mov_b32 v6, v10
	v_mov_b32_e32 v7, v0
	s_mov_b32 s1, 0
	.p2align	6
.LBB32_27:                              ;   Parent Loop BB32_8 Depth=1
                                        ; =>  This Loop Header: Depth=2
                                        ;       Child Loop BB32_28 Depth 3
	s_delay_alu instid0(VALU_DEP_2) | instskip(NEXT) | instid1(VALU_DEP_3)
	v_dual_mov_b32 v3, 0 :: v_dual_mov_b32 v12, v5
	v_dual_mov_b32 v4, 0 :: v_dual_mov_b32 v13, v6
	s_delay_alu instid0(VALU_DEP_3)
	v_mov_b32_e32 v14, v7
	s_mov_b32 s5, 0
.LBB32_28:                              ;   Parent Loop BB32_8 Depth=1
                                        ;     Parent Loop BB32_27 Depth=2
                                        ; =>    This Inner Loop Header: Depth=3
	ds_load_b64 v[15:16], v13
	ds_load_b64 v[17:18], v12
	v_add_nc_u32_e32 v14, 1, v14
	v_add_nc_u32_e32 v13, s28, v13
	;; [unrolled: 1-line block ×3, first 2 shown]
	s_delay_alu instid0(VALU_DEP_3)
	v_cmp_le_u32_e32 vcc_lo, s8, v14
	s_or_b32 s5, vcc_lo, s5
	s_waitcnt lgkmcnt(0)
	v_fma_f64 v[3:4], v[15:16], v[17:18], v[3:4]
	s_and_not1_b32 exec_lo, exec_lo, s5
	s_cbranch_execnz .LBB32_28
; %bb.29:                               ;   in Loop: Header=BB32_27 Depth=2
	s_or_b32 exec_lo, exec_lo, s5
	v_lshl_add_u32 v12, v7, 3, s37
	v_add_nc_u32_e32 v7, s19, v7
	v_add_nc_u32_e32 v6, s36, v6
	;; [unrolled: 1-line block ×3, first 2 shown]
	ds_store_b64 v12, v[3:4]
	v_cmp_le_u32_e32 vcc_lo, s8, v7
	s_or_b32 s1, vcc_lo, s1
	s_delay_alu instid0(SALU_CYCLE_1)
	s_and_not1_b32 exec_lo, exec_lo, s1
	s_cbranch_execnz .LBB32_27
	s_branch .LBB32_7
.LBB32_30:
	s_and_saveexec_b32 s0, s2
	s_cbranch_execz .LBB32_35
; %bb.31:
	v_add_nc_u32_e32 v1, 8, v8
	s_lshl_b32 s2, s18, 3
	s_add_i32 s1, s3, 1
	s_add_i32 s5, s2, 8
	s_mul_i32 s1, s1, s19
	v_mul_lo_u32 v3, s18, v1
	v_mad_u64_u32 v[1:2], null, v0, s3, v[0:1]
	s_mov_b32 s4, 0
	s_mul_i32 s5, s5, s19
	s_delay_alu instid0(VALU_DEP_2)
	v_add3_u32 v4, v3, v8, 0
	.p2align	6
.LBB32_32:                              ; =>This Loop Header: Depth=1
                                        ;     Child Loop BB32_33 Depth 2
	s_delay_alu instid0(VALU_DEP_1)
	v_dual_mov_b32 v5, v4 :: v_dual_mov_b32 v2, v1
	v_mov_b32_e32 v6, v0
	s_mov_b32 s6, 0
	.p2align	6
.LBB32_33:                              ;   Parent Loop BB32_32 Depth=1
                                        ; =>  This Inner Loop Header: Depth=2
	ds_load_b64 v[7:8], v5
	v_ashrrev_i32_e32 v3, 31, v2
	v_add_nc_u32_e32 v6, 1, v6
	v_add_nc_u32_e32 v5, s2, v5
	s_delay_alu instid0(VALU_DEP_3) | instskip(NEXT) | instid1(VALU_DEP_3)
	v_lshlrev_b64 v[9:10], 3, v[2:3]
	v_cmp_le_i32_e32 vcc_lo, s18, v6
	v_add_nc_u32_e32 v2, s3, v2
	s_or_b32 s6, vcc_lo, s6
	s_delay_alu instid0(VALU_DEP_3) | instskip(NEXT) | instid1(VALU_DEP_1)
	v_add_co_u32 v9, s0, s24, v9
	v_add_co_ci_u32_e64 v10, s0, s25, v10, s0
	s_waitcnt lgkmcnt(0)
	global_store_b64 v[9:10], v[7:8], off
	s_and_not1_b32 exec_lo, exec_lo, s6
	s_cbranch_execnz .LBB32_33
; %bb.34:                               ;   in Loop: Header=BB32_32 Depth=1
	s_or_b32 exec_lo, exec_lo, s6
	v_add_nc_u32_e32 v0, s19, v0
	v_add_nc_u32_e32 v1, s1, v1
	;; [unrolled: 1-line block ×3, first 2 shown]
	s_delay_alu instid0(VALU_DEP_3) | instskip(SKIP_1) | instid1(SALU_CYCLE_1)
	v_cmp_le_i32_e32 vcc_lo, s18, v0
	s_or_b32 s4, vcc_lo, s4
	s_and_not1_b32 exec_lo, exec_lo, s4
	s_cbranch_execnz .LBB32_32
.LBB32_35:
	s_nop 0
	s_sendmsg sendmsg(MSG_DEALLOC_VGPRS)
	s_endpgm
	.section	.rodata,"a",@progbits
	.p2align	6, 0x0
	.amdhsa_kernel _ZN9rocsolver6v33100L20larft_kernel_forwardIdPdEEv15rocblas_storev_iiT0_iilPT_lS6_il
		.amdhsa_group_segment_fixed_size 0
		.amdhsa_private_segment_fixed_size 0
		.amdhsa_kernarg_size 336
		.amdhsa_user_sgpr_count 14
		.amdhsa_user_sgpr_dispatch_ptr 0
		.amdhsa_user_sgpr_queue_ptr 0
		.amdhsa_user_sgpr_kernarg_segment_ptr 1
		.amdhsa_user_sgpr_dispatch_id 0
		.amdhsa_user_sgpr_private_segment_size 0
		.amdhsa_wavefront_size32 1
		.amdhsa_uses_dynamic_stack 0
		.amdhsa_enable_private_segment 0
		.amdhsa_system_sgpr_workgroup_id_x 1
		.amdhsa_system_sgpr_workgroup_id_y 1
		.amdhsa_system_sgpr_workgroup_id_z 0
		.amdhsa_system_sgpr_workgroup_info 0
		.amdhsa_system_vgpr_workitem_id 0
		.amdhsa_next_free_vgpr 19
		.amdhsa_next_free_sgpr 44
		.amdhsa_reserve_vcc 1
		.amdhsa_float_round_mode_32 0
		.amdhsa_float_round_mode_16_64 0
		.amdhsa_float_denorm_mode_32 3
		.amdhsa_float_denorm_mode_16_64 3
		.amdhsa_dx10_clamp 1
		.amdhsa_ieee_mode 1
		.amdhsa_fp16_overflow 0
		.amdhsa_workgroup_processor_mode 1
		.amdhsa_memory_ordered 1
		.amdhsa_forward_progress 0
		.amdhsa_shared_vgpr_count 0
		.amdhsa_exception_fp_ieee_invalid_op 0
		.amdhsa_exception_fp_denorm_src 0
		.amdhsa_exception_fp_ieee_div_zero 0
		.amdhsa_exception_fp_ieee_overflow 0
		.amdhsa_exception_fp_ieee_underflow 0
		.amdhsa_exception_fp_ieee_inexact 0
		.amdhsa_exception_int_div_zero 0
	.end_amdhsa_kernel
	.section	.text._ZN9rocsolver6v33100L20larft_kernel_forwardIdPdEEv15rocblas_storev_iiT0_iilPT_lS6_il,"axG",@progbits,_ZN9rocsolver6v33100L20larft_kernel_forwardIdPdEEv15rocblas_storev_iiT0_iilPT_lS6_il,comdat
.Lfunc_end32:
	.size	_ZN9rocsolver6v33100L20larft_kernel_forwardIdPdEEv15rocblas_storev_iiT0_iilPT_lS6_il, .Lfunc_end32-_ZN9rocsolver6v33100L20larft_kernel_forwardIdPdEEv15rocblas_storev_iiT0_iilPT_lS6_il
                                        ; -- End function
	.section	.AMDGPU.csdata,"",@progbits
; Kernel info:
; codeLenInByte = 1680
; NumSgprs: 46
; NumVgprs: 19
; ScratchSize: 0
; MemoryBound: 0
; FloatMode: 240
; IeeeMode: 1
; LDSByteSize: 0 bytes/workgroup (compile time only)
; SGPRBlocks: 5
; VGPRBlocks: 2
; NumSGPRsForWavesPerEU: 46
; NumVGPRsForWavesPerEU: 19
; Occupancy: 16
; WaveLimiterHint : 0
; COMPUTE_PGM_RSRC2:SCRATCH_EN: 0
; COMPUTE_PGM_RSRC2:USER_SGPR: 14
; COMPUTE_PGM_RSRC2:TRAP_HANDLER: 0
; COMPUTE_PGM_RSRC2:TGID_X_EN: 1
; COMPUTE_PGM_RSRC2:TGID_Y_EN: 1
; COMPUTE_PGM_RSRC2:TGID_Z_EN: 0
; COMPUTE_PGM_RSRC2:TIDIG_COMP_CNT: 0
	.section	.text._ZN9rocsolver6v33100L21larft_kernel_backwardIdPdEEv15rocblas_storev_iiT0_iilPT_lS6_il,"axG",@progbits,_ZN9rocsolver6v33100L21larft_kernel_backwardIdPdEEv15rocblas_storev_iiT0_iilPT_lS6_il,comdat
	.globl	_ZN9rocsolver6v33100L21larft_kernel_backwardIdPdEEv15rocblas_storev_iiT0_iilPT_lS6_il ; -- Begin function _ZN9rocsolver6v33100L21larft_kernel_backwardIdPdEEv15rocblas_storev_iiT0_iilPT_lS6_il
	.p2align	8
	.type	_ZN9rocsolver6v33100L21larft_kernel_backwardIdPdEEv15rocblas_storev_iiT0_iilPT_lS6_il,@function
_ZN9rocsolver6v33100L21larft_kernel_backwardIdPdEEv15rocblas_storev_iiT0_iilPT_lS6_il: ; @_ZN9rocsolver6v33100L21larft_kernel_backwardIdPdEEv15rocblas_storev_iiT0_iilPT_lS6_il
; %bb.0:
	s_clause 0x4
	s_load_b64 s[20:21], s[0:1], 0x48
	s_load_b128 s[16:19], s[0:1], 0x0
	s_load_b32 s13, s[0:1], 0x5c
	s_load_b256 s[4:11], s[0:1], 0x20
	s_load_b32 s3, s[0:1], 0x40
	s_ashr_i32 s12, s15, 31
	v_add_nc_u32_e32 v8, 1, v0
	v_lshlrev_b32_e32 v9, 3, v0
	s_waitcnt lgkmcnt(0)
	s_mul_i32 s2, s15, s21
	s_mul_hi_u32 s14, s15, s20
	s_mul_i32 s19, s12, s20
	s_add_i32 s2, s14, s2
	s_mul_i32 s20, s15, s20
	s_add_i32 s21, s2, s19
	v_cmp_gt_i32_e64 s2, s18, v0
	s_lshl_b64 s[20:21], s[20:21], 3
	s_and_b32 s19, s13, 0xffff
	s_add_u32 s24, s10, s20
	s_addc_u32 s25, s11, s21
	s_and_saveexec_b32 s10, s2
	s_cbranch_execz .LBB33_5
; %bb.1:
	s_lshl_b32 s11, s18, 3
	v_add_nc_u32_e32 v3, 1, v0
	v_add3_u32 v4, 0, s11, v9
	v_mov_b32_e32 v5, v0
	s_mov_b32 s13, 0
	s_lshl_b32 s14, s19, 3
	.p2align	6
.LBB33_2:                               ; =>This Loop Header: Depth=1
                                        ;     Child Loop BB33_3 Depth 2
	s_delay_alu instid0(VALU_DEP_1)
	v_dual_mov_b32 v1, v5 :: v_dual_mov_b32 v6, v4
	s_mov_b32 s20, 0
	s_mov_b32 s21, 0
	.p2align	6
.LBB33_3:                               ;   Parent Loop BB33_2 Depth=1
                                        ; =>  This Inner Loop Header: Depth=2
	s_delay_alu instid0(VALU_DEP_1) | instskip(SKIP_1) | instid1(VALU_DEP_1)
	v_ashrrev_i32_e32 v2, 31, v1
	s_add_i32 s21, s21, 1
	v_lshlrev_b64 v[10:11], 3, v[1:2]
	v_add_nc_u32_e32 v1, s3, v1
	s_delay_alu instid0(VALU_DEP_2) | instskip(NEXT) | instid1(VALU_DEP_3)
	v_add_co_u32 v10, vcc_lo, s24, v10
	v_add_co_ci_u32_e32 v11, vcc_lo, s25, v11, vcc_lo
	v_cmp_eq_u32_e32 vcc_lo, s21, v3
	global_load_b64 v[10:11], v[10:11], off
	s_or_b32 s20, vcc_lo, s20
	s_waitcnt vmcnt(0)
	ds_store_b64 v6, v[10:11]
	v_add_nc_u32_e32 v6, s11, v6
	s_and_not1_b32 exec_lo, exec_lo, s20
	s_cbranch_execnz .LBB33_3
; %bb.4:                                ;   in Loop: Header=BB33_2 Depth=1
	s_or_b32 exec_lo, exec_lo, s20
	v_add_nc_u32_e32 v5, s19, v5
	v_add_nc_u32_e32 v3, s19, v3
	;; [unrolled: 1-line block ×3, first 2 shown]
	s_delay_alu instid0(VALU_DEP_3) | instskip(SKIP_1) | instid1(SALU_CYCLE_1)
	v_cmp_le_i32_e32 vcc_lo, s18, v5
	s_or_b32 s13, vcc_lo, s13
	s_and_not1_b32 exec_lo, exec_lo, s13
	s_cbranch_execnz .LBB33_2
.LBB33_5:
	s_or_b32 exec_lo, exec_lo, s10
	s_cmp_lt_i32 s18, 2
	s_waitcnt lgkmcnt(0)
	s_barrier
	buffer_gl0_inv
	s_cbranch_scc1 .LBB33_30
; %bb.6:
	s_load_b128 s[20:23], s[0:1], 0x10
	s_mul_i32 s1, s15, s9
	s_mul_hi_u32 s9, s15, s8
	s_mul_i32 s10, s12, s8
	s_add_i32 s1, s9, s1
	s_mul_i32 s0, s15, s8
	s_add_i32 s1, s1, s10
	s_mul_i32 s10, s5, s15
	s_lshl_b64 s[0:1], s[0:1], 3
	s_mul_i32 s8, s4, s12
	s_mul_hi_u32 s9, s4, s15
	s_waitcnt lgkmcnt(0)
	s_ashr_i32 s5, s22, 31
	s_add_u32 s26, s6, s0
	s_addc_u32 s27, s7, s1
	s_lshl_b32 s28, s18, 3
	s_add_i32 s6, s18, -2
	s_sub_i32 s17, s17, s18
	s_add_i32 s29, s28, 0
	s_cmpk_lg_i32 s16, 0xb5
	s_mul_i32 s0, s4, s15
	s_cselect_b32 s16, -1, 0
	s_add_i32 s1, s9, s8
	s_mov_b32 s4, s22
	s_add_i32 s1, s1, s10
	s_lshl_b64 s[4:5], s[4:5], 3
	s_lshl_b64 s[0:1], s[0:1], 3
	s_mov_b32 s7, 0
	s_add_u32 s8, s0, s4
	s_addc_u32 s9, s1, s5
	s_lshl_b64 s[0:1], s[6:7], 3
	s_mov_b32 s4, s23
	s_add_u32 s5, s8, s0
	s_addc_u32 s10, s9, s1
	s_add_u32 s22, s20, s5
	s_addc_u32 s30, s21, s10
	s_ashr_i32 s5, s23, 31
	v_mul_lo_u32 v10, v0, s23
	s_lshl_b64 s[4:5], s[4:5], 3
	s_add_u32 s20, s20, s8
	s_addc_u32 s21, s21, s9
	s_add_u32 s0, s20, s0
	s_addc_u32 s1, s21, s1
	v_add_co_u32 v1, s0, s0, v9
	s_add_i32 s9, s28, 8
	v_add_co_ci_u32_e64 v2, null, s1, 0, s0
	s_mul_i32 s0, s18, s9
	s_delay_alu instid0(VALU_DEP_2) | instskip(SKIP_1) | instid1(VALU_DEP_2)
	v_add_co_u32 v1, vcc_lo, v1, 8
	s_add_i32 s0, s0, 0
	v_add_co_ci_u32_e32 v2, vcc_lo, 0, v2, vcc_lo
	v_add3_u32 v11, s0, v9, -8
	s_add_i32 s8, s18, -1
	s_lshl_b32 s31, s19, 3
	s_mul_i32 s8, s23, s8
	s_mul_i32 s33, s23, s19
	;; [unrolled: 1-line block ×3, first 2 shown]
	s_xor_b32 s34, s28, -8
	s_branch .LBB33_8
.LBB33_7:                               ;   in Loop: Header=BB33_8 Depth=1
	s_or_b32 exec_lo, exec_lo, s0
	v_add_co_u32 v1, vcc_lo, v1, -8
	s_add_i32 s0, s6, -1
	v_add_co_ci_u32_e32 v2, vcc_lo, -1, v2, vcc_lo
	v_add_nc_u32_e32 v11, s34, v11
	s_add_u32 s22, s22, -8
	s_addc_u32 s30, s30, -1
	s_sub_i32 s8, s8, s23
	s_sub_i32 s10, s10, s23
	s_cmp_lt_i32 s6, 1
	s_mov_b32 s6, s0
	s_waitcnt lgkmcnt(0)
	s_barrier
	buffer_gl0_inv
	s_cbranch_scc1 .LBB33_30
.LBB33_8:                               ; =>This Loop Header: Depth=1
                                        ;     Child Loop BB33_12 Depth 2
                                        ;       Child Loop BB33_14 Depth 3
                                        ;     Child Loop BB33_21 Depth 2
                                        ;       Child Loop BB33_23 Depth 3
	;; [unrolled: 2-line block ×3, first 2 shown]
	s_not_b32 s35, s6
	s_lshl_b32 s0, s6, 3
	s_mul_i32 s1, s6, s18
	s_add_i32 s35, s35, s18
	s_add_i32 s36, s29, s0
	s_lshl_b32 s0, s1, 3
	s_add_i32 s37, s6, s17
	s_add_i32 s36, s36, s0
	v_cmp_gt_i32_e64 s0, s35, v0
	s_and_b32 vcc_lo, exec_lo, s16
	s_mov_b32 s1, -1
	s_cbranch_vccz .LBB33_16
; %bb.9:                                ;   in Loop: Header=BB33_8 Depth=1
	s_delay_alu instid0(VALU_DEP_1)
	s_and_saveexec_b32 s9, s0
	s_cbranch_execz .LBB33_15
; %bb.10:                               ;   in Loop: Header=BB33_8 Depth=1
	s_cmp_gt_i32 s37, 0
	v_dual_mov_b32 v4, v2 :: v_dual_mov_b32 v3, v1
	s_cselect_b32 s11, -1, 0
	s_lshl_b64 s[0:1], s[6:7], 3
	v_mov_b32_e32 v7, v0
	s_add_u32 s0, s26, s0
	s_addc_u32 s1, s27, s1
	s_mov_b32 s14, 0
	s_load_b64 s[12:13], s[0:1], 0x0
	s_add_i32 s15, s36, 8
	s_set_inst_prefetch_distance 0x1
	s_branch .LBB33_12
	.p2align	6
.LBB33_11:                              ;   in Loop: Header=BB33_12 Depth=2
	v_lshlrev_b32_e32 v14, 3, v7
	v_add_nc_u32_e32 v7, s19, v7
	v_add_co_u32 v3, s0, v3, s31
	s_delay_alu instid0(VALU_DEP_1) | instskip(NEXT) | instid1(VALU_DEP_4)
	v_add_co_ci_u32_e64 v4, s0, 0, v4, s0
	v_add_nc_u32_e32 v12, s15, v14
	s_delay_alu instid0(VALU_DEP_4)
	v_cmp_le_i32_e32 vcc_lo, s35, v7
	ds_load_b64 v[12:13], v12
	s_or_b32 s14, vcc_lo, s14
	s_waitcnt lgkmcnt(0)
	v_fma_f64 v[5:6], v[5:6], s[12:13], v[12:13]
	v_add_nc_u32_e32 v12, 0, v14
	ds_store_b64 v12, v[5:6]
	s_and_not1_b32 exec_lo, exec_lo, s14
	s_cbranch_execz .LBB33_15
.LBB33_12:                              ;   Parent Loop BB33_8 Depth=1
                                        ; =>  This Loop Header: Depth=2
                                        ;       Child Loop BB33_14 Depth 3
	v_mov_b32_e32 v5, 0
	v_mov_b32_e32 v6, 0
	s_and_not1_b32 vcc_lo, exec_lo, s11
	s_cbranch_vccnz .LBB33_11
; %bb.13:                               ;   in Loop: Header=BB33_12 Depth=2
	s_mov_b32 s38, 0
	s_mov_b64 s[0:1], 0
	.p2align	6
.LBB33_14:                              ;   Parent Loop BB33_8 Depth=1
                                        ;     Parent Loop BB33_12 Depth=2
                                        ; =>    This Inner Loop Header: Depth=3
	s_delay_alu instid0(SALU_CYCLE_1)
	v_add_co_u32 v12, vcc_lo, v3, s0
	v_add_co_ci_u32_e32 v13, vcc_lo, s1, v4, vcc_lo
	s_add_u32 s40, s22, s0
	s_addc_u32 s41, s30, s1
	s_add_i32 s38, s38, 1
	global_load_b64 v[12:13], v[12:13], off
	s_load_b64 s[40:41], s[40:41], 0x0
	s_add_u32 s0, s0, s4
	s_addc_u32 s1, s1, s5
	s_cmp_ge_i32 s38, s37
	s_waitcnt vmcnt(0) lgkmcnt(0)
	v_fma_f64 v[5:6], v[12:13], s[40:41], v[5:6]
	s_cbranch_scc0 .LBB33_14
	s_branch .LBB33_11
.LBB33_15:                              ;   in Loop: Header=BB33_8 Depth=1
	s_set_inst_prefetch_distance 0x2
	s_or_b32 exec_lo, exec_lo, s9
	s_mov_b32 s1, 0
.LBB33_16:                              ;   in Loop: Header=BB33_8 Depth=1
	s_delay_alu instid0(SALU_CYCLE_1)
	s_and_not1_b32 vcc_lo, exec_lo, s1
	s_cbranch_vccnz .LBB33_25
; %bb.17:                               ;   in Loop: Header=BB33_8 Depth=1
	s_mov_b32 s38, exec_lo
	v_cmpx_gt_i32_e64 s35, v0
	s_cbranch_execz .LBB33_24
; %bb.18:                               ;   in Loop: Header=BB33_8 Depth=1
	s_ashr_i32 s11, s10, 31
	s_ashr_i32 s9, s8, 31
	s_lshl_b64 s[0:1], s[10:11], 3
	s_lshl_b64 s[14:15], s[8:9], 3
	s_add_u32 s0, s20, s0
	s_addc_u32 s1, s21, s1
	s_cmp_gt_i32 s37, 0
	v_dual_mov_b32 v3, v10 :: v_dual_mov_b32 v12, v0
	s_cselect_b32 s9, -1, 0
	s_lshl_b64 s[12:13], s[6:7], 3
	s_mov_b32 s11, 0
	s_add_u32 s12, s26, s12
	s_addc_u32 s13, s27, s13
	s_add_i32 s39, s36, 8
	s_load_b64 s[12:13], s[12:13], 0x0
	s_add_u32 s40, s20, s14
	s_addc_u32 s41, s21, s15
	s_set_inst_prefetch_distance 0x1
	s_branch .LBB33_21
	.p2align	6
.LBB33_19:                              ;   in Loop: Header=BB33_21 Depth=2
	v_mov_b32_e32 v4, 0
	v_mov_b32_e32 v5, 0
.LBB33_20:                              ;   in Loop: Header=BB33_21 Depth=2
	v_lshlrev_b32_e32 v13, 3, v12
	v_add_nc_u32_e32 v12, s19, v12
	v_add_nc_u32_e32 v3, s33, v3
	s_delay_alu instid0(VALU_DEP_3) | instskip(NEXT) | instid1(VALU_DEP_3)
	v_add_nc_u32_e32 v6, s39, v13
	v_cmp_le_i32_e32 vcc_lo, s35, v12
	ds_load_b64 v[6:7], v6
	s_or_b32 s11, vcc_lo, s11
	s_waitcnt lgkmcnt(0)
	v_fma_f64 v[4:5], v[4:5], s[12:13], v[6:7]
	v_add_nc_u32_e32 v6, 0, v13
	ds_store_b64 v6, v[4:5]
	s_and_not1_b32 exec_lo, exec_lo, s11
	s_cbranch_execz .LBB33_24
.LBB33_21:                              ;   Parent Loop BB33_8 Depth=1
                                        ; =>  This Loop Header: Depth=2
                                        ;       Child Loop BB33_23 Depth 3
	s_and_not1_b32 vcc_lo, exec_lo, s9
	s_cbranch_vccnz .LBB33_19
; %bb.22:                               ;   in Loop: Header=BB33_21 Depth=2
	v_ashrrev_i32_e32 v4, 31, v3
	s_mov_b32 s42, 0
	s_mov_b64 s[14:15], s[0:1]
	s_delay_alu instid0(VALU_DEP_1) | instskip(SKIP_2) | instid1(VALU_DEP_3)
	v_lshlrev_b64 v[6:7], 3, v[3:4]
	v_mov_b32_e32 v4, 0
	v_mov_b32_e32 v5, 0
	v_add_co_u32 v6, vcc_lo, s40, v6
	s_delay_alu instid0(VALU_DEP_4)
	v_add_co_ci_u32_e32 v7, vcc_lo, s41, v7, vcc_lo
.LBB33_23:                              ;   Parent Loop BB33_8 Depth=1
                                        ;     Parent Loop BB33_21 Depth=2
                                        ; =>    This Inner Loop Header: Depth=3
	global_load_b64 v[13:14], v[6:7], off
	s_load_b64 s[44:45], s[14:15], 0x0
	v_add_co_u32 v6, vcc_lo, v6, 8
	s_add_i32 s42, s42, 1
	v_add_co_ci_u32_e32 v7, vcc_lo, 0, v7, vcc_lo
	s_add_u32 s14, s14, 8
	s_addc_u32 s15, s15, 0
	s_cmp_ge_i32 s42, s37
	s_waitcnt vmcnt(0) lgkmcnt(0)
	v_fma_f64 v[4:5], v[13:14], s[44:45], v[4:5]
	s_cbranch_scc0 .LBB33_23
	s_branch .LBB33_20
.LBB33_24:                              ;   in Loop: Header=BB33_8 Depth=1
	s_set_inst_prefetch_distance 0x2
	s_or_b32 exec_lo, exec_lo, s38
.LBB33_25:                              ;   in Loop: Header=BB33_8 Depth=1
	s_delay_alu instid0(SALU_CYCLE_1)
	s_mov_b32 s0, exec_lo
	s_waitcnt lgkmcnt(0)
	s_barrier
	buffer_gl0_inv
	v_cmpx_gt_i32_e64 s35, v0
	s_cbranch_execz .LBB33_7
; %bb.26:                               ;   in Loop: Header=BB33_8 Depth=1
	v_dual_mov_b32 v5, v11 :: v_dual_mov_b32 v6, v0
	s_add_i32 s36, s36, 8
	s_mov_b32 s1, 0
	.p2align	6
.LBB33_27:                              ;   Parent Loop BB33_8 Depth=1
                                        ; =>  This Loop Header: Depth=2
                                        ;       Child Loop BB33_28 Depth 3
	v_mov_b32_e32 v3, 0
	s_delay_alu instid0(VALU_DEP_2)
	v_dual_mov_b32 v4, 0 :: v_dual_mov_b32 v7, v5
	s_mov_b32 s11, -1
	s_mov_b32 s9, 0
	s_mov_b32 s12, 0
.LBB33_28:                              ;   Parent Loop BB33_8 Depth=1
                                        ;     Parent Loop BB33_27 Depth=2
                                        ; =>    This Inner Loop Header: Depth=3
	s_delay_alu instid0(SALU_CYCLE_1)
	v_mov_b32_e32 v14, s12
	s_add_i32 s11, s11, 1
	s_add_i32 s12, s12, 8
	v_cmp_eq_u32_e32 vcc_lo, s11, v6
	ds_load_b64 v[12:13], v7
	ds_load_b64 v[14:15], v14
	v_add_nc_u32_e32 v7, s28, v7
	s_or_b32 s9, vcc_lo, s9
	s_waitcnt lgkmcnt(0)
	v_fma_f64 v[3:4], v[12:13], v[14:15], v[3:4]
	s_and_not1_b32 exec_lo, exec_lo, s9
	s_cbranch_execnz .LBB33_28
; %bb.29:                               ;   in Loop: Header=BB33_27 Depth=2
	s_or_b32 exec_lo, exec_lo, s9
	v_lshl_add_u32 v7, v6, 3, s36
	v_add_nc_u32_e32 v6, s19, v6
	v_add_nc_u32_e32 v5, s31, v5
	ds_store_b64 v7, v[3:4]
	v_cmp_le_i32_e32 vcc_lo, s35, v6
	s_or_b32 s1, vcc_lo, s1
	s_delay_alu instid0(SALU_CYCLE_1)
	s_and_not1_b32 exec_lo, exec_lo, s1
	s_cbranch_execnz .LBB33_27
	s_branch .LBB33_7
.LBB33_30:
	s_and_saveexec_b32 s0, s2
	s_cbranch_execz .LBB33_35
; %bb.31:
	s_lshl_b32 s1, s18, 3
	s_mov_b32 s2, 0
	v_add3_u32 v3, 0, s1, v9
	s_lshl_b32 s4, s19, 3
	.p2align	6
.LBB33_32:                              ; =>This Loop Header: Depth=1
                                        ;     Child Loop BB33_33 Depth 2
	s_delay_alu instid0(VALU_DEP_1)
	v_dual_mov_b32 v4, v3 :: v_dual_mov_b32 v1, v0
	s_mov_b32 s5, 0
	s_mov_b32 s6, 0
	.p2align	6
.LBB33_33:                              ;   Parent Loop BB33_32 Depth=1
                                        ; =>  This Inner Loop Header: Depth=2
	ds_load_b64 v[5:6], v4
	v_ashrrev_i32_e32 v2, 31, v1
	s_add_i32 s6, s6, 1
	v_add_nc_u32_e32 v4, s1, v4
	v_cmp_eq_u32_e32 vcc_lo, s6, v8
	s_delay_alu instid0(VALU_DEP_3) | instskip(SKIP_2) | instid1(VALU_DEP_2)
	v_lshlrev_b64 v[9:10], 3, v[1:2]
	v_add_nc_u32_e32 v1, s3, v1
	s_or_b32 s5, vcc_lo, s5
	v_add_co_u32 v9, s0, s24, v9
	s_delay_alu instid0(VALU_DEP_1)
	v_add_co_ci_u32_e64 v10, s0, s25, v10, s0
	s_waitcnt lgkmcnt(0)
	global_store_b64 v[9:10], v[5:6], off
	s_and_not1_b32 exec_lo, exec_lo, s5
	s_cbranch_execnz .LBB33_33
; %bb.34:                               ;   in Loop: Header=BB33_32 Depth=1
	s_or_b32 exec_lo, exec_lo, s5
	v_add_nc_u32_e32 v0, s19, v0
	v_add_nc_u32_e32 v8, s19, v8
	;; [unrolled: 1-line block ×3, first 2 shown]
	s_delay_alu instid0(VALU_DEP_3) | instskip(SKIP_1) | instid1(SALU_CYCLE_1)
	v_cmp_le_i32_e32 vcc_lo, s18, v0
	s_or_b32 s2, vcc_lo, s2
	s_and_not1_b32 exec_lo, exec_lo, s2
	s_cbranch_execnz .LBB33_32
.LBB33_35:
	s_nop 0
	s_sendmsg sendmsg(MSG_DEALLOC_VGPRS)
	s_endpgm
	.section	.rodata,"a",@progbits
	.p2align	6, 0x0
	.amdhsa_kernel _ZN9rocsolver6v33100L21larft_kernel_backwardIdPdEEv15rocblas_storev_iiT0_iilPT_lS6_il
		.amdhsa_group_segment_fixed_size 0
		.amdhsa_private_segment_fixed_size 0
		.amdhsa_kernarg_size 336
		.amdhsa_user_sgpr_count 14
		.amdhsa_user_sgpr_dispatch_ptr 0
		.amdhsa_user_sgpr_queue_ptr 0
		.amdhsa_user_sgpr_kernarg_segment_ptr 1
		.amdhsa_user_sgpr_dispatch_id 0
		.amdhsa_user_sgpr_private_segment_size 0
		.amdhsa_wavefront_size32 1
		.amdhsa_uses_dynamic_stack 0
		.amdhsa_enable_private_segment 0
		.amdhsa_system_sgpr_workgroup_id_x 1
		.amdhsa_system_sgpr_workgroup_id_y 1
		.amdhsa_system_sgpr_workgroup_id_z 0
		.amdhsa_system_sgpr_workgroup_info 0
		.amdhsa_system_vgpr_workitem_id 0
		.amdhsa_next_free_vgpr 16
		.amdhsa_next_free_sgpr 46
		.amdhsa_reserve_vcc 1
		.amdhsa_float_round_mode_32 0
		.amdhsa_float_round_mode_16_64 0
		.amdhsa_float_denorm_mode_32 3
		.amdhsa_float_denorm_mode_16_64 3
		.amdhsa_dx10_clamp 1
		.amdhsa_ieee_mode 1
		.amdhsa_fp16_overflow 0
		.amdhsa_workgroup_processor_mode 1
		.amdhsa_memory_ordered 1
		.amdhsa_forward_progress 0
		.amdhsa_shared_vgpr_count 0
		.amdhsa_exception_fp_ieee_invalid_op 0
		.amdhsa_exception_fp_denorm_src 0
		.amdhsa_exception_fp_ieee_div_zero 0
		.amdhsa_exception_fp_ieee_overflow 0
		.amdhsa_exception_fp_ieee_underflow 0
		.amdhsa_exception_fp_ieee_inexact 0
		.amdhsa_exception_int_div_zero 0
	.end_amdhsa_kernel
	.section	.text._ZN9rocsolver6v33100L21larft_kernel_backwardIdPdEEv15rocblas_storev_iiT0_iilPT_lS6_il,"axG",@progbits,_ZN9rocsolver6v33100L21larft_kernel_backwardIdPdEEv15rocblas_storev_iiT0_iilPT_lS6_il,comdat
.Lfunc_end33:
	.size	_ZN9rocsolver6v33100L21larft_kernel_backwardIdPdEEv15rocblas_storev_iiT0_iilPT_lS6_il, .Lfunc_end33-_ZN9rocsolver6v33100L21larft_kernel_backwardIdPdEEv15rocblas_storev_iiT0_iilPT_lS6_il
                                        ; -- End function
	.section	.AMDGPU.csdata,"",@progbits
; Kernel info:
; codeLenInByte = 1648
; NumSgprs: 48
; NumVgprs: 16
; ScratchSize: 0
; MemoryBound: 0
; FloatMode: 240
; IeeeMode: 1
; LDSByteSize: 0 bytes/workgroup (compile time only)
; SGPRBlocks: 5
; VGPRBlocks: 1
; NumSGPRsForWavesPerEU: 48
; NumVGPRsForWavesPerEU: 16
; Occupancy: 16
; WaveLimiterHint : 0
; COMPUTE_PGM_RSRC2:SCRATCH_EN: 0
; COMPUTE_PGM_RSRC2:USER_SGPR: 14
; COMPUTE_PGM_RSRC2:TRAP_HANDLER: 0
; COMPUTE_PGM_RSRC2:TGID_X_EN: 1
; COMPUTE_PGM_RSRC2:TGID_Y_EN: 1
; COMPUTE_PGM_RSRC2:TGID_Z_EN: 0
; COMPUTE_PGM_RSRC2:TIDIG_COMP_CNT: 0
	.section	.text._ZN9rocsolver6v33100L9copymatA1IdPdEEviiT0_iilPT_,"axG",@progbits,_ZN9rocsolver6v33100L9copymatA1IdPdEEviiT0_iilPT_,comdat
	.globl	_ZN9rocsolver6v33100L9copymatA1IdPdEEviiT0_iilPT_ ; -- Begin function _ZN9rocsolver6v33100L9copymatA1IdPdEEviiT0_iilPT_
	.p2align	8
	.type	_ZN9rocsolver6v33100L9copymatA1IdPdEEviiT0_iilPT_,@function
_ZN9rocsolver6v33100L9copymatA1IdPdEEviiT0_iilPT_: ; @_ZN9rocsolver6v33100L9copymatA1IdPdEEviiT0_iilPT_
; %bb.0:
	s_clause 0x1
	s_load_b32 s2, s[0:1], 0x34
	s_load_b64 s[8:9], s[0:1], 0x0
	v_bfe_u32 v2, v0, 10, 10
	v_and_b32_e32 v3, 0x3ff, v0
	s_waitcnt lgkmcnt(0)
	s_lshr_b32 s3, s2, 16
	s_and_b32 s2, s2, 0xffff
	s_delay_alu instid0(VALU_DEP_1) | instskip(SKIP_1) | instid1(VALU_DEP_2)
	v_mad_u64_u32 v[0:1], null, s14, s3, v[2:3]
	v_mad_u64_u32 v[1:2], null, s13, s2, v[3:4]
	v_cmp_gt_u32_e32 vcc_lo, s8, v0
	s_delay_alu instid0(VALU_DEP_2) | instskip(NEXT) | instid1(VALU_DEP_1)
	v_cmp_gt_u32_e64 s2, s9, v1
	s_and_b32 s2, s2, vcc_lo
	s_delay_alu instid0(SALU_CYCLE_1)
	s_and_saveexec_b32 s3, s2
	s_cbranch_execz .LBB34_2
; %bb.1:
	s_load_b256 s[0:7], s[0:1], 0x8
	s_ashr_i32 s10, s8, 31
	s_ashr_i32 s11, s9, 31
	s_mul_hi_u32 s12, s8, s15
	s_mul_i32 s13, s8, s15
	s_mul_i32 s10, s10, s15
	;; [unrolled: 1-line block ×3, first 2 shown]
	s_mul_hi_u32 s14, s13, s9
	s_add_i32 s10, s12, s10
	s_add_i32 s11, s14, s11
	s_mul_i32 s12, s10, s9
	s_mul_i32 s10, s13, s9
	s_add_i32 s11, s11, s12
	v_mad_u64_u32 v[6:7], null, v1, s8, v[0:1]
	s_lshl_b64 s[10:11], s[10:11], 3
	s_waitcnt lgkmcnt(0)
	v_mad_u64_u32 v[2:3], null, v1, s3, v[0:1]
	s_add_u32 s9, s6, s10
	s_mul_i32 s5, s15, s5
	s_mul_hi_u32 s10, s15, s4
	v_mov_b32_e32 v3, 0
	s_mul_i32 s4, s15, s4
	s_addc_u32 s3, s7, s11
	s_add_i32 s5, s10, s5
	s_mov_b32 s6, s2
	s_lshl_b64 s[4:5], s[4:5], 3
	s_ashr_i32 s7, s2, 31
	v_lshlrev_b64 v[4:5], 3, v[2:3]
	s_add_u32 s2, s0, s4
	s_addc_u32 s4, s1, s5
	s_lshl_b64 s[0:1], s[6:7], 3
	v_mov_b32_e32 v7, v3
	s_add_u32 s0, s2, s0
	s_addc_u32 s1, s4, s1
	v_add_co_u32 v4, vcc_lo, s0, v4
	v_add_co_ci_u32_e32 v5, vcc_lo, s1, v5, vcc_lo
	v_lshlrev_b64 v[0:1], 3, v[6:7]
	global_load_b64 v[4:5], v[4:5], off
	v_add_co_u32 v0, vcc_lo, s9, v0
	v_add_co_ci_u32_e32 v1, vcc_lo, s3, v1, vcc_lo
	s_waitcnt vmcnt(0)
	global_store_b64 v[0:1], v[4:5], off
.LBB34_2:
	s_nop 0
	s_sendmsg sendmsg(MSG_DEALLOC_VGPRS)
	s_endpgm
	.section	.rodata,"a",@progbits
	.p2align	6, 0x0
	.amdhsa_kernel _ZN9rocsolver6v33100L9copymatA1IdPdEEviiT0_iilPT_
		.amdhsa_group_segment_fixed_size 0
		.amdhsa_private_segment_fixed_size 0
		.amdhsa_kernarg_size 296
		.amdhsa_user_sgpr_count 13
		.amdhsa_user_sgpr_dispatch_ptr 0
		.amdhsa_user_sgpr_queue_ptr 0
		.amdhsa_user_sgpr_kernarg_segment_ptr 1
		.amdhsa_user_sgpr_dispatch_id 0
		.amdhsa_user_sgpr_private_segment_size 0
		.amdhsa_wavefront_size32 1
		.amdhsa_uses_dynamic_stack 0
		.amdhsa_enable_private_segment 0
		.amdhsa_system_sgpr_workgroup_id_x 1
		.amdhsa_system_sgpr_workgroup_id_y 1
		.amdhsa_system_sgpr_workgroup_id_z 1
		.amdhsa_system_sgpr_workgroup_info 0
		.amdhsa_system_vgpr_workitem_id 1
		.amdhsa_next_free_vgpr 8
		.amdhsa_next_free_sgpr 16
		.amdhsa_reserve_vcc 1
		.amdhsa_float_round_mode_32 0
		.amdhsa_float_round_mode_16_64 0
		.amdhsa_float_denorm_mode_32 3
		.amdhsa_float_denorm_mode_16_64 3
		.amdhsa_dx10_clamp 1
		.amdhsa_ieee_mode 1
		.amdhsa_fp16_overflow 0
		.amdhsa_workgroup_processor_mode 1
		.amdhsa_memory_ordered 1
		.amdhsa_forward_progress 0
		.amdhsa_shared_vgpr_count 0
		.amdhsa_exception_fp_ieee_invalid_op 0
		.amdhsa_exception_fp_denorm_src 0
		.amdhsa_exception_fp_ieee_div_zero 0
		.amdhsa_exception_fp_ieee_overflow 0
		.amdhsa_exception_fp_ieee_underflow 0
		.amdhsa_exception_fp_ieee_inexact 0
		.amdhsa_exception_int_div_zero 0
	.end_amdhsa_kernel
	.section	.text._ZN9rocsolver6v33100L9copymatA1IdPdEEviiT0_iilPT_,"axG",@progbits,_ZN9rocsolver6v33100L9copymatA1IdPdEEviiT0_iilPT_,comdat
.Lfunc_end34:
	.size	_ZN9rocsolver6v33100L9copymatA1IdPdEEviiT0_iilPT_, .Lfunc_end34-_ZN9rocsolver6v33100L9copymatA1IdPdEEviiT0_iilPT_
                                        ; -- End function
	.section	.AMDGPU.csdata,"",@progbits
; Kernel info:
; codeLenInByte = 320
; NumSgprs: 18
; NumVgprs: 8
; ScratchSize: 0
; MemoryBound: 0
; FloatMode: 240
; IeeeMode: 1
; LDSByteSize: 0 bytes/workgroup (compile time only)
; SGPRBlocks: 2
; VGPRBlocks: 0
; NumSGPRsForWavesPerEU: 18
; NumVGPRsForWavesPerEU: 8
; Occupancy: 16
; WaveLimiterHint : 0
; COMPUTE_PGM_RSRC2:SCRATCH_EN: 0
; COMPUTE_PGM_RSRC2:USER_SGPR: 13
; COMPUTE_PGM_RSRC2:TRAP_HANDLER: 0
; COMPUTE_PGM_RSRC2:TGID_X_EN: 1
; COMPUTE_PGM_RSRC2:TGID_Y_EN: 1
; COMPUTE_PGM_RSRC2:TGID_Z_EN: 1
; COMPUTE_PGM_RSRC2:TIDIG_COMP_CNT: 1
	.section	.text._ZN9rocsolver6v33100L8addmatA1IdPdEEviiT0_iilPT_,"axG",@progbits,_ZN9rocsolver6v33100L8addmatA1IdPdEEviiT0_iilPT_,comdat
	.globl	_ZN9rocsolver6v33100L8addmatA1IdPdEEviiT0_iilPT_ ; -- Begin function _ZN9rocsolver6v33100L8addmatA1IdPdEEviiT0_iilPT_
	.p2align	8
	.type	_ZN9rocsolver6v33100L8addmatA1IdPdEEviiT0_iilPT_,@function
_ZN9rocsolver6v33100L8addmatA1IdPdEEviiT0_iilPT_: ; @_ZN9rocsolver6v33100L8addmatA1IdPdEEviiT0_iilPT_
; %bb.0:
	s_clause 0x1
	s_load_b32 s2, s[0:1], 0x34
	s_load_b64 s[8:9], s[0:1], 0x0
	v_bfe_u32 v2, v0, 10, 10
	v_and_b32_e32 v3, 0x3ff, v0
	s_waitcnt lgkmcnt(0)
	s_lshr_b32 s3, s2, 16
	s_and_b32 s2, s2, 0xffff
	s_delay_alu instid0(VALU_DEP_1) | instskip(SKIP_1) | instid1(VALU_DEP_2)
	v_mad_u64_u32 v[0:1], null, s14, s3, v[2:3]
	v_mad_u64_u32 v[1:2], null, s13, s2, v[3:4]
	v_cmp_gt_u32_e32 vcc_lo, s8, v0
	s_delay_alu instid0(VALU_DEP_2) | instskip(NEXT) | instid1(VALU_DEP_1)
	v_cmp_gt_u32_e64 s2, s9, v1
	s_and_b32 s2, s2, vcc_lo
	s_delay_alu instid0(SALU_CYCLE_1)
	s_and_saveexec_b32 s3, s2
	s_cbranch_execz .LBB35_2
; %bb.1:
	s_load_b256 s[0:7], s[0:1], 0x8
	s_ashr_i32 s10, s8, 31
	s_ashr_i32 s11, s9, 31
	s_mul_hi_u32 s12, s8, s15
	s_mul_i32 s13, s8, s15
	s_mul_i32 s10, s10, s15
	s_mul_i32 s11, s13, s11
	s_mul_hi_u32 s14, s13, s9
	s_add_i32 s10, s12, s10
	s_add_i32 s11, s14, s11
	s_mul_i32 s12, s10, s9
	v_mad_u64_u32 v[2:3], null, v1, s8, v[0:1]
	v_mov_b32_e32 v3, 0
	s_mul_i32 s10, s13, s9
	s_add_i32 s11, s11, s12
	s_delay_alu instid0(SALU_CYCLE_1)
	s_lshl_b64 s[8:9], s[10:11], 3
	s_waitcnt lgkmcnt(0)
	v_mad_u64_u32 v[4:5], null, v1, s3, v[0:1]
	s_add_u32 s8, s6, s8
	s_mul_i32 s5, s15, s5
	s_mul_hi_u32 s6, s15, s4
	v_mov_b32_e32 v5, v3
	s_mul_i32 s4, s15, s4
	s_addc_u32 s9, s7, s9
	s_add_i32 s5, s6, s5
	v_lshlrev_b64 v[0:1], 3, v[2:3]
	s_lshl_b64 s[4:5], s[4:5], 3
	s_mov_b32 s6, s2
	s_ashr_i32 s7, s2, 31
	v_lshlrev_b64 v[2:3], 3, v[4:5]
	s_add_u32 s2, s0, s4
	s_addc_u32 s3, s1, s5
	s_lshl_b64 s[0:1], s[6:7], 3
	v_add_co_u32 v0, vcc_lo, s8, v0
	s_add_u32 s0, s2, s0
	v_add_co_ci_u32_e32 v1, vcc_lo, s9, v1, vcc_lo
	s_addc_u32 s1, s3, s1
	v_add_co_u32 v2, vcc_lo, s0, v2
	v_add_co_ci_u32_e32 v3, vcc_lo, s1, v3, vcc_lo
	global_load_b64 v[0:1], v[0:1], off
	global_load_b64 v[4:5], v[2:3], off
	s_waitcnt vmcnt(0)
	v_add_f64 v[0:1], v[4:5], -v[0:1]
	global_store_b64 v[2:3], v[0:1], off
.LBB35_2:
	s_nop 0
	s_sendmsg sendmsg(MSG_DEALLOC_VGPRS)
	s_endpgm
	.section	.rodata,"a",@progbits
	.p2align	6, 0x0
	.amdhsa_kernel _ZN9rocsolver6v33100L8addmatA1IdPdEEviiT0_iilPT_
		.amdhsa_group_segment_fixed_size 0
		.amdhsa_private_segment_fixed_size 0
		.amdhsa_kernarg_size 296
		.amdhsa_user_sgpr_count 13
		.amdhsa_user_sgpr_dispatch_ptr 0
		.amdhsa_user_sgpr_queue_ptr 0
		.amdhsa_user_sgpr_kernarg_segment_ptr 1
		.amdhsa_user_sgpr_dispatch_id 0
		.amdhsa_user_sgpr_private_segment_size 0
		.amdhsa_wavefront_size32 1
		.amdhsa_uses_dynamic_stack 0
		.amdhsa_enable_private_segment 0
		.amdhsa_system_sgpr_workgroup_id_x 1
		.amdhsa_system_sgpr_workgroup_id_y 1
		.amdhsa_system_sgpr_workgroup_id_z 1
		.amdhsa_system_sgpr_workgroup_info 0
		.amdhsa_system_vgpr_workitem_id 1
		.amdhsa_next_free_vgpr 6
		.amdhsa_next_free_sgpr 16
		.amdhsa_reserve_vcc 1
		.amdhsa_float_round_mode_32 0
		.amdhsa_float_round_mode_16_64 0
		.amdhsa_float_denorm_mode_32 3
		.amdhsa_float_denorm_mode_16_64 3
		.amdhsa_dx10_clamp 1
		.amdhsa_ieee_mode 1
		.amdhsa_fp16_overflow 0
		.amdhsa_workgroup_processor_mode 1
		.amdhsa_memory_ordered 1
		.amdhsa_forward_progress 0
		.amdhsa_shared_vgpr_count 0
		.amdhsa_exception_fp_ieee_invalid_op 0
		.amdhsa_exception_fp_denorm_src 0
		.amdhsa_exception_fp_ieee_div_zero 0
		.amdhsa_exception_fp_ieee_overflow 0
		.amdhsa_exception_fp_ieee_underflow 0
		.amdhsa_exception_fp_ieee_inexact 0
		.amdhsa_exception_int_div_zero 0
	.end_amdhsa_kernel
	.section	.text._ZN9rocsolver6v33100L8addmatA1IdPdEEviiT0_iilPT_,"axG",@progbits,_ZN9rocsolver6v33100L8addmatA1IdPdEEviiT0_iilPT_,comdat
.Lfunc_end35:
	.size	_ZN9rocsolver6v33100L8addmatA1IdPdEEviiT0_iilPT_, .Lfunc_end35-_ZN9rocsolver6v33100L8addmatA1IdPdEEviiT0_iilPT_
                                        ; -- End function
	.section	.AMDGPU.csdata,"",@progbits
; Kernel info:
; codeLenInByte = 340
; NumSgprs: 18
; NumVgprs: 6
; ScratchSize: 0
; MemoryBound: 0
; FloatMode: 240
; IeeeMode: 1
; LDSByteSize: 0 bytes/workgroup (compile time only)
; SGPRBlocks: 2
; VGPRBlocks: 0
; NumSGPRsForWavesPerEU: 18
; NumVGPRsForWavesPerEU: 6
; Occupancy: 16
; WaveLimiterHint : 0
; COMPUTE_PGM_RSRC2:SCRATCH_EN: 0
; COMPUTE_PGM_RSRC2:USER_SGPR: 13
; COMPUTE_PGM_RSRC2:TRAP_HANDLER: 0
; COMPUTE_PGM_RSRC2:TGID_X_EN: 1
; COMPUTE_PGM_RSRC2:TGID_Y_EN: 1
; COMPUTE_PGM_RSRC2:TGID_Z_EN: 1
; COMPUTE_PGM_RSRC2:TIDIG_COMP_CNT: 1
	.section	.text._ZN9rocsolver6v33100L17check_singularityIdPdEEviT0_iilPi,"axG",@progbits,_ZN9rocsolver6v33100L17check_singularityIdPdEEviT0_iilPi,comdat
	.globl	_ZN9rocsolver6v33100L17check_singularityIdPdEEviT0_iilPi ; -- Begin function _ZN9rocsolver6v33100L17check_singularityIdPdEEviT0_iilPi
	.p2align	8
	.type	_ZN9rocsolver6v33100L17check_singularityIdPdEEviT0_iilPi,@function
_ZN9rocsolver6v33100L17check_singularityIdPdEEviT0_iilPi: ; @_ZN9rocsolver6v33100L17check_singularityIdPdEEviT0_iilPi
; %bb.0:
	v_bfe_u32 v0, v0, 10, 10
	s_mov_b32 s8, s15
	s_delay_alu instid0(VALU_DEP_1)
	v_cmp_eq_u32_e32 vcc_lo, 0, v0
	s_and_saveexec_b32 s2, vcc_lo
	s_cbranch_execz .LBB36_2
; %bb.1:
	v_mov_b32_e32 v1, 0
	ds_store_b32 v1, v1
.LBB36_2:
	s_or_b32 exec_lo, exec_lo, s2
	s_clause 0x1
	s_load_b32 s3, s[0:1], 0x0
	s_load_b128 s[4:7], s[0:1], 0x18
	s_ashr_i32 s9, s8, 31
	s_mov_b32 s10, exec_lo
	s_waitcnt lgkmcnt(0)
	s_barrier
	buffer_gl0_inv
	v_cmpx_gt_i32_e64 s3, v0
	s_cbranch_execz .LBB36_9
; %bb.3:
	s_clause 0x1
	s_load_b128 s[12:15], s[0:1], 0x8
	s_load_b32 s11, s[0:1], 0x34
	s_mul_i32 s0, s8, s5
	s_mul_hi_u32 s1, s8, s4
	s_mul_i32 s2, s9, s4
	s_add_i32 s1, s1, s0
	s_mul_i32 s0, s8, s4
	s_add_i32 s1, s1, s2
	v_mov_b32_e32 v1, 0
	s_lshl_b64 s[0:1], s[0:1], 3
	s_waitcnt lgkmcnt(0)
	s_ashr_i32 s5, s14, 31
	s_mov_b32 s4, s14
	s_add_u32 s2, s12, s0
	s_addc_u32 s12, s13, s1
	s_lshl_b64 s[0:1], s[4:5], 3
	s_delay_alu instid0(SALU_CYCLE_1)
	s_add_u32 s2, s2, s0
	s_addc_u32 s4, s12, s1
	s_add_i32 s5, s15, 1
	s_lshr_b32 s11, s11, 16
	s_mov_b32 s12, 0
	s_set_inst_prefetch_distance 0x1
	s_branch .LBB36_5
	.p2align	6
.LBB36_4:                               ;   in Loop: Header=BB36_5 Depth=1
	s_or_b32 exec_lo, exec_lo, s13
	v_add_nc_u32_e32 v0, s11, v0
	s_delay_alu instid0(VALU_DEP_1) | instskip(NEXT) | instid1(VALU_DEP_1)
	v_cmp_le_i32_e64 s0, s3, v0
	s_or_b32 s12, s0, s12
	s_delay_alu instid0(SALU_CYCLE_1)
	s_and_not1_b32 exec_lo, exec_lo, s12
	s_cbranch_execz .LBB36_9
.LBB36_5:                               ; =>This Loop Header: Depth=1
                                        ;     Child Loop BB36_8 Depth 2
	v_mul_lo_u32 v2, v0, s5
	s_mov_b32 s13, exec_lo
	s_delay_alu instid0(VALU_DEP_1) | instskip(NEXT) | instid1(VALU_DEP_1)
	v_ashrrev_i32_e32 v3, 31, v2
	v_lshlrev_b64 v[2:3], 3, v[2:3]
	s_delay_alu instid0(VALU_DEP_1) | instskip(NEXT) | instid1(VALU_DEP_1)
	v_add_co_u32 v2, s0, s2, v2
	v_add_co_ci_u32_e64 v3, s0, s4, v3, s0
	global_load_b64 v[2:3], v[2:3], off
	s_waitcnt vmcnt(0)
	v_cmpx_eq_f64_e32 0, v[2:3]
	s_cbranch_execz .LBB36_4
; %bb.6:                                ;   in Loop: Header=BB36_5 Depth=1
	ds_load_b32 v2, v1
	s_waitcnt lgkmcnt(0)
	v_readfirstlane_b32 s1, v2
	v_add_nc_u32_e32 v2, 1, v0
	s_delay_alu instid0(VALU_DEP_2) | instskip(NEXT) | instid1(VALU_DEP_1)
	s_cmp_eq_u32 s1, 0
	v_cmp_gt_i32_e64 s0, s1, v2
	s_cselect_b32 s14, -1, 0
	s_delay_alu instid0(VALU_DEP_1) | instid1(SALU_CYCLE_1)
	s_or_b32 s0, s14, s0
	s_delay_alu instid0(SALU_CYCLE_1)
	s_and_b32 exec_lo, exec_lo, s0
	s_cbranch_execz .LBB36_4
; %bb.7:                                ;   in Loop: Header=BB36_5 Depth=1
	v_mov_b32_e32 v3, s1
	s_mov_b32 s14, 0
.LBB36_8:                               ;   Parent Loop BB36_5 Depth=1
                                        ; =>  This Inner Loop Header: Depth=2
	ds_cmpstore_rtn_b32 v3, v1, v2, v3
	s_waitcnt lgkmcnt(0)
	v_cmp_ne_u32_e64 s0, 0, v3
	v_cmp_le_i32_e64 s1, v3, v2
	s_delay_alu instid0(VALU_DEP_1) | instskip(NEXT) | instid1(SALU_CYCLE_1)
	s_and_b32 s0, s0, s1
	s_and_b32 s0, exec_lo, s0
	s_delay_alu instid0(SALU_CYCLE_1) | instskip(NEXT) | instid1(SALU_CYCLE_1)
	s_or_b32 s14, s0, s14
	s_and_not1_b32 exec_lo, exec_lo, s14
	s_cbranch_execnz .LBB36_8
	s_branch .LBB36_4
.LBB36_9:
	s_set_inst_prefetch_distance 0x2
	s_or_b32 exec_lo, exec_lo, s10
	s_barrier
	buffer_gl0_inv
	s_and_saveexec_b32 s0, vcc_lo
	s_cbranch_execz .LBB36_11
; %bb.10:
	v_mov_b32_e32 v0, 0
	s_lshl_b64 s[0:1], s[8:9], 2
	s_delay_alu instid0(SALU_CYCLE_1)
	s_add_u32 s0, s6, s0
	s_addc_u32 s1, s7, s1
	ds_load_b32 v1, v0
	s_waitcnt lgkmcnt(0)
	global_store_b32 v0, v1, s[0:1]
.LBB36_11:
	s_nop 0
	s_sendmsg sendmsg(MSG_DEALLOC_VGPRS)
	s_endpgm
	.section	.rodata,"a",@progbits
	.p2align	6, 0x0
	.amdhsa_kernel _ZN9rocsolver6v33100L17check_singularityIdPdEEviT0_iilPi
		.amdhsa_group_segment_fixed_size 4
		.amdhsa_private_segment_fixed_size 0
		.amdhsa_kernarg_size 296
		.amdhsa_user_sgpr_count 15
		.amdhsa_user_sgpr_dispatch_ptr 0
		.amdhsa_user_sgpr_queue_ptr 0
		.amdhsa_user_sgpr_kernarg_segment_ptr 1
		.amdhsa_user_sgpr_dispatch_id 0
		.amdhsa_user_sgpr_private_segment_size 0
		.amdhsa_wavefront_size32 1
		.amdhsa_uses_dynamic_stack 0
		.amdhsa_enable_private_segment 0
		.amdhsa_system_sgpr_workgroup_id_x 1
		.amdhsa_system_sgpr_workgroup_id_y 0
		.amdhsa_system_sgpr_workgroup_id_z 0
		.amdhsa_system_sgpr_workgroup_info 0
		.amdhsa_system_vgpr_workitem_id 1
		.amdhsa_next_free_vgpr 4
		.amdhsa_next_free_sgpr 16
		.amdhsa_reserve_vcc 1
		.amdhsa_float_round_mode_32 0
		.amdhsa_float_round_mode_16_64 0
		.amdhsa_float_denorm_mode_32 3
		.amdhsa_float_denorm_mode_16_64 3
		.amdhsa_dx10_clamp 1
		.amdhsa_ieee_mode 1
		.amdhsa_fp16_overflow 0
		.amdhsa_workgroup_processor_mode 1
		.amdhsa_memory_ordered 1
		.amdhsa_forward_progress 0
		.amdhsa_shared_vgpr_count 0
		.amdhsa_exception_fp_ieee_invalid_op 0
		.amdhsa_exception_fp_denorm_src 0
		.amdhsa_exception_fp_ieee_div_zero 0
		.amdhsa_exception_fp_ieee_overflow 0
		.amdhsa_exception_fp_ieee_underflow 0
		.amdhsa_exception_fp_ieee_inexact 0
		.amdhsa_exception_int_div_zero 0
	.end_amdhsa_kernel
	.section	.text._ZN9rocsolver6v33100L17check_singularityIdPdEEviT0_iilPi,"axG",@progbits,_ZN9rocsolver6v33100L17check_singularityIdPdEEviT0_iilPi,comdat
.Lfunc_end36:
	.size	_ZN9rocsolver6v33100L17check_singularityIdPdEEviT0_iilPi, .Lfunc_end36-_ZN9rocsolver6v33100L17check_singularityIdPdEEviT0_iilPi
                                        ; -- End function
	.section	.AMDGPU.csdata,"",@progbits
; Kernel info:
; codeLenInByte = 520
; NumSgprs: 18
; NumVgprs: 4
; ScratchSize: 0
; MemoryBound: 0
; FloatMode: 240
; IeeeMode: 1
; LDSByteSize: 4 bytes/workgroup (compile time only)
; SGPRBlocks: 2
; VGPRBlocks: 0
; NumSGPRsForWavesPerEU: 18
; NumVGPRsForWavesPerEU: 4
; Occupancy: 16
; WaveLimiterHint : 0
; COMPUTE_PGM_RSRC2:SCRATCH_EN: 0
; COMPUTE_PGM_RSRC2:USER_SGPR: 15
; COMPUTE_PGM_RSRC2:TRAP_HANDLER: 0
; COMPUTE_PGM_RSRC2:TGID_X_EN: 1
; COMPUTE_PGM_RSRC2:TGID_Y_EN: 0
; COMPUTE_PGM_RSRC2:TGID_Z_EN: 0
; COMPUTE_PGM_RSRC2:TIDIG_COMP_CNT: 1
	.section	.text._ZN9rocsolver6v33100L8copy_matIdPdNS0_9info_maskEEEvNS0_17copymat_directionEiiT0_iilPT_T1_13rocblas_fill_17rocblas_diagonal_,"axG",@progbits,_ZN9rocsolver6v33100L8copy_matIdPdNS0_9info_maskEEEvNS0_17copymat_directionEiiT0_iilPT_T1_13rocblas_fill_17rocblas_diagonal_,comdat
	.globl	_ZN9rocsolver6v33100L8copy_matIdPdNS0_9info_maskEEEvNS0_17copymat_directionEiiT0_iilPT_T1_13rocblas_fill_17rocblas_diagonal_ ; -- Begin function _ZN9rocsolver6v33100L8copy_matIdPdNS0_9info_maskEEEvNS0_17copymat_directionEiiT0_iilPT_T1_13rocblas_fill_17rocblas_diagonal_
	.p2align	8
	.type	_ZN9rocsolver6v33100L8copy_matIdPdNS0_9info_maskEEEvNS0_17copymat_directionEiiT0_iilPT_T1_13rocblas_fill_17rocblas_diagonal_,@function
_ZN9rocsolver6v33100L8copy_matIdPdNS0_9info_maskEEEvNS0_17copymat_directionEiiT0_iilPT_T1_13rocblas_fill_17rocblas_diagonal_: ; @_ZN9rocsolver6v33100L8copy_matIdPdNS0_9info_maskEEEvNS0_17copymat_directionEiiT0_iilPT_T1_13rocblas_fill_17rocblas_diagonal_
; %bb.0:
	s_clause 0x2
	s_load_b32 s6, s[0:1], 0x38
	s_load_b32 s7, s[0:1], 0x54
	s_load_b64 s[2:3], s[0:1], 0x30
	s_mov_b32 s16, s15
	s_ashr_i32 s17, s15, 31
	v_bfe_u32 v2, v0, 10, 10
	s_lshl_b64 s[4:5], s[16:17], 2
	v_and_b32_e32 v3, 0x3ff, v0
	s_waitcnt lgkmcnt(0)
	s_and_b32 s8, s6, 0xff
	s_lshr_b32 s9, s7, 16
	s_and_b32 s10, s7, 0xffff
	s_add_u32 s2, s2, s4
	s_addc_u32 s3, s3, s5
	s_load_b32 s2, s[2:3], 0x0
	s_load_b128 s[4:7], s[0:1], 0x0
	v_mad_u64_u32 v[0:1], null, s14, s9, v[2:3]
	v_mad_u64_u32 v[1:2], null, s13, s10, v[3:4]
	s_waitcnt lgkmcnt(0)
	s_cmp_lg_u32 s2, 0
	s_delay_alu instid0(VALU_DEP_1) | instskip(SKIP_1) | instid1(SALU_CYCLE_1)
	v_cmp_gt_u32_e32 vcc_lo, s5, v1
	s_cselect_b32 s2, -1, 0
	v_cndmask_b32_e64 v2, 0, 1, s2
	s_delay_alu instid0(VALU_DEP_4) | instskip(NEXT) | instid1(VALU_DEP_2)
	v_cmp_gt_u32_e64 s2, s6, v0
	v_readfirstlane_b32 s3, v2
	s_delay_alu instid0(VALU_DEP_1) | instskip(SKIP_1) | instid1(VALU_DEP_2)
	s_cmp_lg_u32 s8, s3
	s_cselect_b32 s3, -1, 0
	s_and_b32 s2, s2, vcc_lo
	s_delay_alu instid0(SALU_CYCLE_1) | instskip(NEXT) | instid1(SALU_CYCLE_1)
	s_and_b32 s2, s3, s2
	s_and_saveexec_b32 s3, s2
	s_cbranch_execz .LBB37_14
; %bb.1:
	s_clause 0x1
	s_load_b128 s[8:11], s[0:1], 0x20
	s_load_b64 s[12:13], s[0:1], 0x40
	s_waitcnt lgkmcnt(0)
	s_cmpk_lt_i32 s12, 0x7a
	s_cbranch_scc1 .LBB37_4
; %bb.2:
	s_cmpk_gt_i32 s12, 0x7a
	s_cbranch_scc0 .LBB37_5
; %bb.3:
	s_cmpk_lg_i32 s12, 0x7b
	s_mov_b32 s3, -1
	s_cselect_b32 s7, -1, 0
	s_cbranch_execz .LBB37_6
	s_branch .LBB37_7
.LBB37_4:
	s_mov_b32 s7, 0
	s_mov_b32 s3, 0
	s_cbranch_execnz .LBB37_8
	s_branch .LBB37_10
.LBB37_5:
	s_mov_b32 s3, 0
	s_mov_b32 s7, 0
.LBB37_6:
	v_cmp_gt_u32_e32 vcc_lo, v1, v0
	v_cmp_le_u32_e64 s2, v1, v0
	s_and_not1_b32 s3, s3, exec_lo
	s_and_not1_b32 s7, s7, exec_lo
	s_and_b32 s14, vcc_lo, exec_lo
	s_delay_alu instid0(VALU_DEP_1)
	s_and_b32 s2, s2, exec_lo
	s_or_b32 s3, s3, s14
	s_or_b32 s7, s7, s2
.LBB37_7:
	s_branch .LBB37_10
.LBB37_8:
	s_cmpk_eq_i32 s12, 0x79
	s_mov_b32 s7, -1
	s_cbranch_scc0 .LBB37_10
; %bb.9:
	v_cmp_gt_u32_e32 vcc_lo, v0, v1
	v_cmp_le_u32_e64 s2, v0, v1
	s_and_not1_b32 s3, s3, exec_lo
	s_and_b32 s7, vcc_lo, exec_lo
	s_delay_alu instid0(SALU_CYCLE_1) | instskip(NEXT) | instid1(VALU_DEP_1)
	s_or_b32 s3, s3, s7
	s_or_not1_b32 s7, s2, exec_lo
.LBB37_10:
	s_delay_alu instid0(SALU_CYCLE_1)
	s_and_saveexec_b32 s2, s7
; %bb.11:
	v_cmp_eq_u32_e32 vcc_lo, v1, v0
	s_cmpk_eq_i32 s13, 0x83
	s_cselect_b32 s7, -1, 0
	s_and_not1_b32 s3, s3, exec_lo
	s_and_b32 s7, s7, vcc_lo
	s_delay_alu instid0(SALU_CYCLE_1) | instskip(NEXT) | instid1(SALU_CYCLE_1)
	s_and_b32 s7, s7, exec_lo
	s_or_b32 s3, s3, s7
; %bb.12:
	s_or_b32 exec_lo, exec_lo, s2
	s_delay_alu instid0(SALU_CYCLE_1)
	s_and_b32 exec_lo, exec_lo, s3
	s_cbranch_execz .LBB37_14
; %bb.13:
	s_load_b128 s[0:3], s[0:1], 0x10
	s_mul_i32 s9, s16, s9
	s_mul_hi_u32 s13, s16, s8
	s_mul_i32 s8, s16, s8
	s_add_i32 s9, s13, s9
	s_ashr_i32 s7, s5, 31
	s_ashr_i32 s12, s6, 31
	s_mul_i32 s15, s5, s16
	s_lshl_b64 s[8:9], s[8:9], 3
	s_mul_hi_u32 s14, s5, s16
	s_mul_i32 s7, s7, s16
	s_mul_i32 s16, s15, s12
	s_waitcnt lgkmcnt(0)
	s_ashr_i32 s13, s2, 31
	s_mov_b32 s12, s2
	s_add_u32 s2, s0, s8
	s_addc_u32 s8, s1, s9
	s_lshl_b64 s[0:1], s[12:13], 3
	s_mul_hi_u32 s9, s15, s6
	s_add_u32 s2, s2, s0
	s_addc_u32 s8, s8, s1
	s_add_i32 s0, s14, s7
	s_add_i32 s1, s9, s16
	s_mul_i32 s7, s0, s6
	s_mul_i32 s0, s15, s6
	s_add_i32 s1, s1, s7
	s_delay_alu instid0(SALU_CYCLE_1) | instskip(NEXT) | instid1(SALU_CYCLE_1)
	s_lshl_b64 s[0:1], s[0:1], 3
	s_add_u32 s0, s10, s0
	s_addc_u32 s1, s11, s1
	s_cmp_eq_u32 s4, 0
	s_cselect_b32 s4, s3, s5
	s_cselect_b32 s6, s2, s0
	v_mad_u64_u32 v[2:3], null, v0, s4, v[1:2]
	v_mov_b32_e32 v3, 0
	s_cselect_b32 s4, s8, s1
	s_cselect_b32 s3, s5, s3
	;; [unrolled: 1-line block ×4, first 2 shown]
	s_delay_alu instid0(VALU_DEP_2) | instskip(SKIP_2) | instid1(VALU_DEP_3)
	v_lshlrev_b64 v[4:5], 3, v[2:3]
	v_mad_u64_u32 v[6:7], null, v0, s3, v[1:2]
	v_mov_b32_e32 v7, v3
	v_add_co_u32 v4, vcc_lo, s6, v4
	s_delay_alu instid0(VALU_DEP_4) | instskip(NEXT) | instid1(VALU_DEP_3)
	v_add_co_ci_u32_e32 v5, vcc_lo, s4, v5, vcc_lo
	v_lshlrev_b64 v[0:1], 3, v[6:7]
	global_load_b64 v[4:5], v[4:5], off
	v_add_co_u32 v0, vcc_lo, s0, v0
	v_add_co_ci_u32_e32 v1, vcc_lo, s1, v1, vcc_lo
	s_waitcnt vmcnt(0)
	global_store_b64 v[0:1], v[4:5], off
.LBB37_14:
	s_nop 0
	s_sendmsg sendmsg(MSG_DEALLOC_VGPRS)
	s_endpgm
	.section	.rodata,"a",@progbits
	.p2align	6, 0x0
	.amdhsa_kernel _ZN9rocsolver6v33100L8copy_matIdPdNS0_9info_maskEEEvNS0_17copymat_directionEiiT0_iilPT_T1_13rocblas_fill_17rocblas_diagonal_
		.amdhsa_group_segment_fixed_size 0
		.amdhsa_private_segment_fixed_size 0
		.amdhsa_kernarg_size 328
		.amdhsa_user_sgpr_count 13
		.amdhsa_user_sgpr_dispatch_ptr 0
		.amdhsa_user_sgpr_queue_ptr 0
		.amdhsa_user_sgpr_kernarg_segment_ptr 1
		.amdhsa_user_sgpr_dispatch_id 0
		.amdhsa_user_sgpr_private_segment_size 0
		.amdhsa_wavefront_size32 1
		.amdhsa_uses_dynamic_stack 0
		.amdhsa_enable_private_segment 0
		.amdhsa_system_sgpr_workgroup_id_x 1
		.amdhsa_system_sgpr_workgroup_id_y 1
		.amdhsa_system_sgpr_workgroup_id_z 1
		.amdhsa_system_sgpr_workgroup_info 0
		.amdhsa_system_vgpr_workitem_id 1
		.amdhsa_next_free_vgpr 8
		.amdhsa_next_free_sgpr 18
		.amdhsa_reserve_vcc 1
		.amdhsa_float_round_mode_32 0
		.amdhsa_float_round_mode_16_64 0
		.amdhsa_float_denorm_mode_32 3
		.amdhsa_float_denorm_mode_16_64 3
		.amdhsa_dx10_clamp 1
		.amdhsa_ieee_mode 1
		.amdhsa_fp16_overflow 0
		.amdhsa_workgroup_processor_mode 1
		.amdhsa_memory_ordered 1
		.amdhsa_forward_progress 0
		.amdhsa_shared_vgpr_count 0
		.amdhsa_exception_fp_ieee_invalid_op 0
		.amdhsa_exception_fp_denorm_src 0
		.amdhsa_exception_fp_ieee_div_zero 0
		.amdhsa_exception_fp_ieee_overflow 0
		.amdhsa_exception_fp_ieee_underflow 0
		.amdhsa_exception_fp_ieee_inexact 0
		.amdhsa_exception_int_div_zero 0
	.end_amdhsa_kernel
	.section	.text._ZN9rocsolver6v33100L8copy_matIdPdNS0_9info_maskEEEvNS0_17copymat_directionEiiT0_iilPT_T1_13rocblas_fill_17rocblas_diagonal_,"axG",@progbits,_ZN9rocsolver6v33100L8copy_matIdPdNS0_9info_maskEEEvNS0_17copymat_directionEiiT0_iilPT_T1_13rocblas_fill_17rocblas_diagonal_,comdat
.Lfunc_end37:
	.size	_ZN9rocsolver6v33100L8copy_matIdPdNS0_9info_maskEEEvNS0_17copymat_directionEiiT0_iilPT_T1_13rocblas_fill_17rocblas_diagonal_, .Lfunc_end37-_ZN9rocsolver6v33100L8copy_matIdPdNS0_9info_maskEEEvNS0_17copymat_directionEiiT0_iilPT_T1_13rocblas_fill_17rocblas_diagonal_
                                        ; -- End function
	.section	.AMDGPU.csdata,"",@progbits
; Kernel info:
; codeLenInByte = 680
; NumSgprs: 20
; NumVgprs: 8
; ScratchSize: 0
; MemoryBound: 0
; FloatMode: 240
; IeeeMode: 1
; LDSByteSize: 0 bytes/workgroup (compile time only)
; SGPRBlocks: 2
; VGPRBlocks: 0
; NumSGPRsForWavesPerEU: 20
; NumVGPRsForWavesPerEU: 8
; Occupancy: 16
; WaveLimiterHint : 0
; COMPUTE_PGM_RSRC2:SCRATCH_EN: 0
; COMPUTE_PGM_RSRC2:USER_SGPR: 13
; COMPUTE_PGM_RSRC2:TRAP_HANDLER: 0
; COMPUTE_PGM_RSRC2:TGID_X_EN: 1
; COMPUTE_PGM_RSRC2:TGID_Y_EN: 1
; COMPUTE_PGM_RSRC2:TGID_Z_EN: 1
; COMPUTE_PGM_RSRC2:TIDIG_COMP_CNT: 1
	.section	.text._ZN9rocsolver6v33100L13gels_set_zeroIdPdEEviiiT0_iilPKi,"axG",@progbits,_ZN9rocsolver6v33100L13gels_set_zeroIdPdEEviiiT0_iilPKi,comdat
	.globl	_ZN9rocsolver6v33100L13gels_set_zeroIdPdEEviiiT0_iilPKi ; -- Begin function _ZN9rocsolver6v33100L13gels_set_zeroIdPdEEviiiT0_iilPKi
	.p2align	8
	.type	_ZN9rocsolver6v33100L13gels_set_zeroIdPdEEviiiT0_iilPKi,@function
_ZN9rocsolver6v33100L13gels_set_zeroIdPdEEviiiT0_iilPKi: ; @_ZN9rocsolver6v33100L13gels_set_zeroIdPdEEviiiT0_iilPKi
; %bb.0:
	s_clause 0x1
	s_load_b32 s2, s[0:1], 0x3c
	s_load_b128 s[4:7], s[0:1], 0x0
	v_and_b32_e32 v2, 0x3ff, v0
	v_bfe_u32 v3, v0, 10, 10
	s_waitcnt lgkmcnt(0)
	s_lshr_b32 s3, s2, 16
	s_and_b32 s2, s2, 0xffff
	s_delay_alu instid0(VALU_DEP_1) | instid1(SALU_CYCLE_1)
	v_mad_u64_u32 v[0:1], null, s13, s2, v[2:3]
	v_mad_u64_u32 v[1:2], null, s14, s3, v[3:4]
	s_sub_i32 s2, s5, s4
	s_delay_alu instid0(VALU_DEP_2) | instid1(SALU_CYCLE_1)
	v_cmp_gt_u32_e32 vcc_lo, s2, v0
	s_delay_alu instid0(VALU_DEP_2) | instskip(NEXT) | instid1(VALU_DEP_1)
	v_cmp_gt_u32_e64 s2, s6, v1
	s_and_b32 s2, s2, vcc_lo
	s_delay_alu instid0(SALU_CYCLE_1)
	s_and_saveexec_b32 s3, s2
	s_cbranch_execz .LBB38_2
; %bb.1:
	s_load_b128 s[8:11], s[0:1], 0x20
	s_mov_b32 s12, s15
	s_mov_b32 s13, 0
	s_delay_alu instid0(SALU_CYCLE_1)
	s_lshl_b64 s[2:3], s[12:13], 2
	s_waitcnt lgkmcnt(0)
	s_add_u32 s2, s10, s2
	s_addc_u32 s3, s11, s3
	s_load_b32 s2, s[2:3], 0x0
	s_waitcnt lgkmcnt(0)
	s_cmp_lg_u32 s2, 0
	s_cbranch_scc0 .LBB38_3
.LBB38_2:
	s_endpgm
.LBB38_3:
	s_load_b128 s[0:3], s[0:1], 0x10
	s_mul_hi_u32 s5, s12, s8
	s_mul_i32 s6, s12, s8
	s_waitcnt lgkmcnt(0)
	v_mul_lo_u32 v2, v1, s3
	s_mul_i32 s3, s12, s9
	v_mov_b32_e32 v1, 0
	s_add_i32 s7, s5, s3
	s_ashr_i32 s3, s2, 31
	s_lshl_b64 s[6:7], s[6:7], 3
	s_delay_alu instid0(VALU_DEP_2) | instskip(SKIP_3) | instid1(SALU_CYCLE_1)
	v_add3_u32 v0, v0, s4, v2
	s_add_u32 s4, s0, s6
	s_addc_u32 s5, s1, s7
	s_lshl_b64 s[0:1], s[2:3], 3
	s_add_u32 s0, s4, s0
	v_lshlrev_b64 v[2:3], 3, v[0:1]
	s_addc_u32 s1, s5, s1
	v_mov_b32_e32 v0, v1
	s_delay_alu instid0(VALU_DEP_2) | instskip(NEXT) | instid1(VALU_DEP_3)
	v_add_co_u32 v2, vcc_lo, s0, v2
	v_add_co_ci_u32_e32 v3, vcc_lo, s1, v3, vcc_lo
	global_store_b64 v[2:3], v[0:1], off
	s_nop 0
	s_sendmsg sendmsg(MSG_DEALLOC_VGPRS)
	s_endpgm
	.section	.rodata,"a",@progbits
	.p2align	6, 0x0
	.amdhsa_kernel _ZN9rocsolver6v33100L13gels_set_zeroIdPdEEviiiT0_iilPKi
		.amdhsa_group_segment_fixed_size 0
		.amdhsa_private_segment_fixed_size 0
		.amdhsa_kernarg_size 304
		.amdhsa_user_sgpr_count 13
		.amdhsa_user_sgpr_dispatch_ptr 0
		.amdhsa_user_sgpr_queue_ptr 0
		.amdhsa_user_sgpr_kernarg_segment_ptr 1
		.amdhsa_user_sgpr_dispatch_id 0
		.amdhsa_user_sgpr_private_segment_size 0
		.amdhsa_wavefront_size32 1
		.amdhsa_uses_dynamic_stack 0
		.amdhsa_enable_private_segment 0
		.amdhsa_system_sgpr_workgroup_id_x 1
		.amdhsa_system_sgpr_workgroup_id_y 1
		.amdhsa_system_sgpr_workgroup_id_z 1
		.amdhsa_system_sgpr_workgroup_info 0
		.amdhsa_system_vgpr_workitem_id 1
		.amdhsa_next_free_vgpr 5
		.amdhsa_next_free_sgpr 16
		.amdhsa_reserve_vcc 1
		.amdhsa_float_round_mode_32 0
		.amdhsa_float_round_mode_16_64 0
		.amdhsa_float_denorm_mode_32 3
		.amdhsa_float_denorm_mode_16_64 3
		.amdhsa_dx10_clamp 1
		.amdhsa_ieee_mode 1
		.amdhsa_fp16_overflow 0
		.amdhsa_workgroup_processor_mode 1
		.amdhsa_memory_ordered 1
		.amdhsa_forward_progress 0
		.amdhsa_shared_vgpr_count 0
		.amdhsa_exception_fp_ieee_invalid_op 0
		.amdhsa_exception_fp_denorm_src 0
		.amdhsa_exception_fp_ieee_div_zero 0
		.amdhsa_exception_fp_ieee_overflow 0
		.amdhsa_exception_fp_ieee_underflow 0
		.amdhsa_exception_fp_ieee_inexact 0
		.amdhsa_exception_int_div_zero 0
	.end_amdhsa_kernel
	.section	.text._ZN9rocsolver6v33100L13gels_set_zeroIdPdEEviiiT0_iilPKi,"axG",@progbits,_ZN9rocsolver6v33100L13gels_set_zeroIdPdEEviiiT0_iilPKi,comdat
.Lfunc_end38:
	.size	_ZN9rocsolver6v33100L13gels_set_zeroIdPdEEviiiT0_iilPKi, .Lfunc_end38-_ZN9rocsolver6v33100L13gels_set_zeroIdPdEEviiiT0_iilPKi
                                        ; -- End function
	.section	.AMDGPU.csdata,"",@progbits
; Kernel info:
; codeLenInByte = 300
; NumSgprs: 18
; NumVgprs: 5
; ScratchSize: 0
; MemoryBound: 0
; FloatMode: 240
; IeeeMode: 1
; LDSByteSize: 0 bytes/workgroup (compile time only)
; SGPRBlocks: 2
; VGPRBlocks: 0
; NumSGPRsForWavesPerEU: 18
; NumVGPRsForWavesPerEU: 5
; Occupancy: 16
; WaveLimiterHint : 0
; COMPUTE_PGM_RSRC2:SCRATCH_EN: 0
; COMPUTE_PGM_RSRC2:USER_SGPR: 13
; COMPUTE_PGM_RSRC2:TRAP_HANDLER: 0
; COMPUTE_PGM_RSRC2:TGID_X_EN: 1
; COMPUTE_PGM_RSRC2:TGID_Y_EN: 1
; COMPUTE_PGM_RSRC2:TGID_Z_EN: 1
; COMPUTE_PGM_RSRC2:TIDIG_COMP_CNT: 1
	.section	.text._ZN9rocsolver6v33100L6iota_nI19rocblas_complex_numIfEEEvPT_jS4_,"axG",@progbits,_ZN9rocsolver6v33100L6iota_nI19rocblas_complex_numIfEEEvPT_jS4_,comdat
	.globl	_ZN9rocsolver6v33100L6iota_nI19rocblas_complex_numIfEEEvPT_jS4_ ; -- Begin function _ZN9rocsolver6v33100L6iota_nI19rocblas_complex_numIfEEEvPT_jS4_
	.p2align	8
	.type	_ZN9rocsolver6v33100L6iota_nI19rocblas_complex_numIfEEEvPT_jS4_,@function
_ZN9rocsolver6v33100L6iota_nI19rocblas_complex_numIfEEEvPT_jS4_: ; @_ZN9rocsolver6v33100L6iota_nI19rocblas_complex_numIfEEEvPT_jS4_
; %bb.0:
	s_load_b32 s2, s[0:1], 0x8
	s_waitcnt lgkmcnt(0)
	v_cmp_gt_u32_e32 vcc_lo, s2, v0
	s_and_saveexec_b32 s2, vcc_lo
	s_cbranch_execz .LBB39_2
; %bb.1:
	s_clause 0x1
	s_load_b64 s[2:3], s[0:1], 0xc
	s_load_b64 s[0:1], s[0:1], 0x0
	v_cvt_f32_ubyte0_e32 v1, v0
	s_waitcnt lgkmcnt(0)
	s_delay_alu instid0(VALU_DEP_1)
	v_dual_add_f32 v1, s2, v1 :: v_dual_lshlrev_b32 v0, 3, v0
	v_add_f32_e64 v2, s3, 0
	global_store_b64 v0, v[1:2], s[0:1]
.LBB39_2:
	s_nop 0
	s_sendmsg sendmsg(MSG_DEALLOC_VGPRS)
	s_endpgm
	.section	.rodata,"a",@progbits
	.p2align	6, 0x0
	.amdhsa_kernel _ZN9rocsolver6v33100L6iota_nI19rocblas_complex_numIfEEEvPT_jS4_
		.amdhsa_group_segment_fixed_size 0
		.amdhsa_private_segment_fixed_size 0
		.amdhsa_kernarg_size 20
		.amdhsa_user_sgpr_count 15
		.amdhsa_user_sgpr_dispatch_ptr 0
		.amdhsa_user_sgpr_queue_ptr 0
		.amdhsa_user_sgpr_kernarg_segment_ptr 1
		.amdhsa_user_sgpr_dispatch_id 0
		.amdhsa_user_sgpr_private_segment_size 0
		.amdhsa_wavefront_size32 1
		.amdhsa_uses_dynamic_stack 0
		.amdhsa_enable_private_segment 0
		.amdhsa_system_sgpr_workgroup_id_x 1
		.amdhsa_system_sgpr_workgroup_id_y 0
		.amdhsa_system_sgpr_workgroup_id_z 0
		.amdhsa_system_sgpr_workgroup_info 0
		.amdhsa_system_vgpr_workitem_id 0
		.amdhsa_next_free_vgpr 3
		.amdhsa_next_free_sgpr 4
		.amdhsa_reserve_vcc 1
		.amdhsa_float_round_mode_32 0
		.amdhsa_float_round_mode_16_64 0
		.amdhsa_float_denorm_mode_32 3
		.amdhsa_float_denorm_mode_16_64 3
		.amdhsa_dx10_clamp 1
		.amdhsa_ieee_mode 1
		.amdhsa_fp16_overflow 0
		.amdhsa_workgroup_processor_mode 1
		.amdhsa_memory_ordered 1
		.amdhsa_forward_progress 0
		.amdhsa_shared_vgpr_count 0
		.amdhsa_exception_fp_ieee_invalid_op 0
		.amdhsa_exception_fp_denorm_src 0
		.amdhsa_exception_fp_ieee_div_zero 0
		.amdhsa_exception_fp_ieee_overflow 0
		.amdhsa_exception_fp_ieee_underflow 0
		.amdhsa_exception_fp_ieee_inexact 0
		.amdhsa_exception_int_div_zero 0
	.end_amdhsa_kernel
	.section	.text._ZN9rocsolver6v33100L6iota_nI19rocblas_complex_numIfEEEvPT_jS4_,"axG",@progbits,_ZN9rocsolver6v33100L6iota_nI19rocblas_complex_numIfEEEvPT_jS4_,comdat
.Lfunc_end39:
	.size	_ZN9rocsolver6v33100L6iota_nI19rocblas_complex_numIfEEEvPT_jS4_, .Lfunc_end39-_ZN9rocsolver6v33100L6iota_nI19rocblas_complex_numIfEEEvPT_jS4_
                                        ; -- End function
	.section	.AMDGPU.csdata,"",@progbits
; Kernel info:
; codeLenInByte = 92
; NumSgprs: 6
; NumVgprs: 3
; ScratchSize: 0
; MemoryBound: 0
; FloatMode: 240
; IeeeMode: 1
; LDSByteSize: 0 bytes/workgroup (compile time only)
; SGPRBlocks: 0
; VGPRBlocks: 0
; NumSGPRsForWavesPerEU: 6
; NumVGPRsForWavesPerEU: 3
; Occupancy: 16
; WaveLimiterHint : 0
; COMPUTE_PGM_RSRC2:SCRATCH_EN: 0
; COMPUTE_PGM_RSRC2:USER_SGPR: 15
; COMPUTE_PGM_RSRC2:TRAP_HANDLER: 0
; COMPUTE_PGM_RSRC2:TGID_X_EN: 1
; COMPUTE_PGM_RSRC2:TGID_Y_EN: 0
; COMPUTE_PGM_RSRC2:TGID_Z_EN: 0
; COMPUTE_PGM_RSRC2:TIDIG_COMP_CNT: 0
	.section	.text._ZN9rocsolver6v33100L8set_zeroI19rocblas_complex_numIfEPS3_EEviiT0_iil13rocblas_fill_,"axG",@progbits,_ZN9rocsolver6v33100L8set_zeroI19rocblas_complex_numIfEPS3_EEviiT0_iil13rocblas_fill_,comdat
	.globl	_ZN9rocsolver6v33100L8set_zeroI19rocblas_complex_numIfEPS3_EEviiT0_iil13rocblas_fill_ ; -- Begin function _ZN9rocsolver6v33100L8set_zeroI19rocblas_complex_numIfEPS3_EEviiT0_iil13rocblas_fill_
	.p2align	8
	.type	_ZN9rocsolver6v33100L8set_zeroI19rocblas_complex_numIfEPS3_EEviiT0_iil13rocblas_fill_,@function
_ZN9rocsolver6v33100L8set_zeroI19rocblas_complex_numIfEPS3_EEviiT0_iil13rocblas_fill_: ; @_ZN9rocsolver6v33100L8set_zeroI19rocblas_complex_numIfEPS3_EEviiT0_iil13rocblas_fill_
; %bb.0:
	s_clause 0x1
	s_load_b32 s4, s[0:1], 0x34
	s_load_b64 s[2:3], s[0:1], 0x0
	v_and_b32_e32 v2, 0x3ff, v0
	v_bfe_u32 v3, v0, 10, 10
	s_waitcnt lgkmcnt(0)
	s_lshr_b32 s5, s4, 16
	s_and_b32 s4, s4, 0xffff
	s_delay_alu instid0(VALU_DEP_1) | instid1(SALU_CYCLE_1)
	v_mad_u64_u32 v[0:1], null, s13, s4, v[2:3]
	v_mad_u64_u32 v[1:2], null, s14, s5, v[3:4]
	s_delay_alu instid0(VALU_DEP_2) | instskip(NEXT) | instid1(VALU_DEP_2)
	v_cmp_gt_u32_e32 vcc_lo, s2, v0
	v_cmp_gt_u32_e64 s2, s3, v1
	s_delay_alu instid0(VALU_DEP_1) | instskip(NEXT) | instid1(SALU_CYCLE_1)
	s_and_b32 s2, vcc_lo, s2
	s_and_saveexec_b32 s3, s2
	s_cbranch_execz .LBB40_12
; %bb.1:
	s_load_b32 s3, s[0:1], 0x20
	s_waitcnt lgkmcnt(0)
	s_cmpk_lt_i32 s3, 0x7a
	s_cbranch_scc1 .LBB40_4
; %bb.2:
	s_cmpk_gt_i32 s3, 0x7a
	s_cbranch_scc0 .LBB40_5
; %bb.3:
	s_cmpk_eq_i32 s3, 0x7b
	s_cselect_b32 s2, -1, 0
	s_cbranch_execz .LBB40_6
	s_branch .LBB40_7
.LBB40_4:
	s_mov_b32 s2, 0
	s_cbranch_execnz .LBB40_8
	s_branch .LBB40_10
.LBB40_5:
	s_mov_b32 s2, 0
.LBB40_6:
	v_cmp_gt_u32_e32 vcc_lo, v1, v0
	s_and_not1_b32 s2, s2, exec_lo
	s_and_b32 s4, vcc_lo, exec_lo
	s_delay_alu instid0(SALU_CYCLE_1)
	s_or_b32 s2, s2, s4
.LBB40_7:
	s_branch .LBB40_10
.LBB40_8:
	s_cmpk_eq_i32 s3, 0x79
	s_cbranch_scc0 .LBB40_10
; %bb.9:
	v_cmp_gt_u32_e32 vcc_lo, v0, v1
	s_and_not1_b32 s2, s2, exec_lo
	s_and_b32 s3, vcc_lo, exec_lo
	s_delay_alu instid0(SALU_CYCLE_1)
	s_or_b32 s2, s2, s3
.LBB40_10:
	s_delay_alu instid0(SALU_CYCLE_1)
	s_and_b32 exec_lo, exec_lo, s2
	s_cbranch_execz .LBB40_12
; %bb.11:
	s_clause 0x1
	s_load_b128 s[4:7], s[0:1], 0x8
	s_load_b64 s[0:1], s[0:1], 0x18
	s_waitcnt lgkmcnt(0)
	v_mad_u64_u32 v[2:3], null, v1, s7, v[0:1]
	s_mul_i32 s1, s15, s1
	s_mul_hi_u32 s2, s15, s0
	v_mov_b32_e32 v3, 0
	s_mul_i32 s0, s15, s0
	s_add_i32 s1, s2, s1
	s_ashr_i32 s3, s6, 31
	s_lshl_b64 s[0:1], s[0:1], 3
	s_mov_b32 s2, s6
	v_lshlrev_b64 v[0:1], 3, v[2:3]
	s_add_u32 s4, s4, s0
	s_addc_u32 s5, s5, s1
	s_lshl_b64 s[0:1], s[2:3], 3
	v_mov_b32_e32 v2, v3
	s_add_u32 s0, s4, s0
	s_addc_u32 s1, s5, s1
	v_add_co_u32 v0, vcc_lo, s0, v0
	v_add_co_ci_u32_e32 v1, vcc_lo, s1, v1, vcc_lo
	global_store_b64 v[0:1], v[2:3], off
.LBB40_12:
	s_nop 0
	s_sendmsg sendmsg(MSG_DEALLOC_VGPRS)
	s_endpgm
	.section	.rodata,"a",@progbits
	.p2align	6, 0x0
	.amdhsa_kernel _ZN9rocsolver6v33100L8set_zeroI19rocblas_complex_numIfEPS3_EEviiT0_iil13rocblas_fill_
		.amdhsa_group_segment_fixed_size 0
		.amdhsa_private_segment_fixed_size 0
		.amdhsa_kernarg_size 296
		.amdhsa_user_sgpr_count 13
		.amdhsa_user_sgpr_dispatch_ptr 0
		.amdhsa_user_sgpr_queue_ptr 0
		.amdhsa_user_sgpr_kernarg_segment_ptr 1
		.amdhsa_user_sgpr_dispatch_id 0
		.amdhsa_user_sgpr_private_segment_size 0
		.amdhsa_wavefront_size32 1
		.amdhsa_uses_dynamic_stack 0
		.amdhsa_enable_private_segment 0
		.amdhsa_system_sgpr_workgroup_id_x 1
		.amdhsa_system_sgpr_workgroup_id_y 1
		.amdhsa_system_sgpr_workgroup_id_z 1
		.amdhsa_system_sgpr_workgroup_info 0
		.amdhsa_system_vgpr_workitem_id 1
		.amdhsa_next_free_vgpr 5
		.amdhsa_next_free_sgpr 16
		.amdhsa_reserve_vcc 1
		.amdhsa_float_round_mode_32 0
		.amdhsa_float_round_mode_16_64 0
		.amdhsa_float_denorm_mode_32 3
		.amdhsa_float_denorm_mode_16_64 3
		.amdhsa_dx10_clamp 1
		.amdhsa_ieee_mode 1
		.amdhsa_fp16_overflow 0
		.amdhsa_workgroup_processor_mode 1
		.amdhsa_memory_ordered 1
		.amdhsa_forward_progress 0
		.amdhsa_shared_vgpr_count 0
		.amdhsa_exception_fp_ieee_invalid_op 0
		.amdhsa_exception_fp_denorm_src 0
		.amdhsa_exception_fp_ieee_div_zero 0
		.amdhsa_exception_fp_ieee_overflow 0
		.amdhsa_exception_fp_ieee_underflow 0
		.amdhsa_exception_fp_ieee_inexact 0
		.amdhsa_exception_int_div_zero 0
	.end_amdhsa_kernel
	.section	.text._ZN9rocsolver6v33100L8set_zeroI19rocblas_complex_numIfEPS3_EEviiT0_iil13rocblas_fill_,"axG",@progbits,_ZN9rocsolver6v33100L8set_zeroI19rocblas_complex_numIfEPS3_EEviiT0_iil13rocblas_fill_,comdat
.Lfunc_end40:
	.size	_ZN9rocsolver6v33100L8set_zeroI19rocblas_complex_numIfEPS3_EEviiT0_iil13rocblas_fill_, .Lfunc_end40-_ZN9rocsolver6v33100L8set_zeroI19rocblas_complex_numIfEPS3_EEviiT0_iil13rocblas_fill_
                                        ; -- End function
	.section	.AMDGPU.csdata,"",@progbits
; Kernel info:
; codeLenInByte = 356
; NumSgprs: 18
; NumVgprs: 5
; ScratchSize: 0
; MemoryBound: 0
; FloatMode: 240
; IeeeMode: 1
; LDSByteSize: 0 bytes/workgroup (compile time only)
; SGPRBlocks: 2
; VGPRBlocks: 0
; NumSGPRsForWavesPerEU: 18
; NumVGPRsForWavesPerEU: 5
; Occupancy: 16
; WaveLimiterHint : 0
; COMPUTE_PGM_RSRC2:SCRATCH_EN: 0
; COMPUTE_PGM_RSRC2:USER_SGPR: 13
; COMPUTE_PGM_RSRC2:TRAP_HANDLER: 0
; COMPUTE_PGM_RSRC2:TGID_X_EN: 1
; COMPUTE_PGM_RSRC2:TGID_Y_EN: 1
; COMPUTE_PGM_RSRC2:TGID_Z_EN: 1
; COMPUTE_PGM_RSRC2:TIDIG_COMP_CNT: 1
	.section	.text._ZN9rocsolver6v33100L18geqr2_kernel_smallILi256E19rocblas_complex_numIfEifPS3_EEvT1_S5_T3_lS5_lPT2_lPT0_l,"axG",@progbits,_ZN9rocsolver6v33100L18geqr2_kernel_smallILi256E19rocblas_complex_numIfEifPS3_EEvT1_S5_T3_lS5_lPT2_lPT0_l,comdat
	.globl	_ZN9rocsolver6v33100L18geqr2_kernel_smallILi256E19rocblas_complex_numIfEifPS3_EEvT1_S5_T3_lS5_lPT2_lPT0_l ; -- Begin function _ZN9rocsolver6v33100L18geqr2_kernel_smallILi256E19rocblas_complex_numIfEifPS3_EEvT1_S5_T3_lS5_lPT2_lPT0_l
	.p2align	8
	.type	_ZN9rocsolver6v33100L18geqr2_kernel_smallILi256E19rocblas_complex_numIfEifPS3_EEvT1_S5_T3_lS5_lPT2_lPT0_l,@function
_ZN9rocsolver6v33100L18geqr2_kernel_smallILi256E19rocblas_complex_numIfEifPS3_EEvT1_S5_T3_lS5_lPT2_lPT0_l: ; @_ZN9rocsolver6v33100L18geqr2_kernel_smallILi256E19rocblas_complex_numIfEifPS3_EEvT1_S5_T3_lS5_lPT2_lPT0_l
; %bb.0:
	s_clause 0x4
	s_load_b256 s[4:11], s[0:1], 0x20
	s_load_b64 s[12:13], s[0:1], 0x0
	s_load_b128 s[24:27], s[0:1], 0x8
	s_load_b32 s17, s[0:1], 0x18
	s_load_b64 s[2:3], s[0:1], 0x40
	s_ashr_i32 s21, s15, 31
	v_and_b32_e32 v1, 0x7f, v0
	v_lshrrev_b32_e32 v5, 7, v0
	s_delay_alu instid0(VALU_DEP_2)
	v_lshlrev_b32_e32 v6, 3, v1
	s_waitcnt lgkmcnt(0)
	s_mul_i32 s0, s15, s5
	s_mul_hi_u32 s1, s15, s4
	s_mul_i32 s5, s21, s4
	s_add_i32 s1, s1, s0
	s_mul_i32 s0, s15, s4
	s_add_i32 s1, s1, s5
	s_delay_alu instid0(SALU_CYCLE_1) | instskip(SKIP_4) | instid1(SALU_CYCLE_1)
	s_lshl_b64 s[4:5], s[0:1], 3
	v_cmp_gt_i32_e64 s0, s12, v1
	s_add_u32 s1, s24, s4
	s_addc_u32 s16, s25, s5
	s_lshl_b64 s[4:5], s[26:27], 3
	s_add_u32 s14, s1, s4
	s_addc_u32 s16, s16, s5
	s_and_saveexec_b32 s4, s0
	s_cbranch_execz .LBB41_6
; %bb.1:
	v_lshrrev_b32_e32 v7, 7, v0
	s_mov_b32 s5, 0
	s_lshl_b32 s18, s12, 4
	s_lshl_b32 s19, s17, 1
	v_mov_b32_e32 v9, v1
	v_mul_lo_u32 v2, s12, v7
	v_cmp_gt_i32_e32 vcc_lo, s13, v7
	s_delay_alu instid0(VALU_DEP_2) | instskip(SKIP_1) | instid1(VALU_DEP_2)
	v_lshlrev_b32_e32 v4, 3, v2
	v_mad_u64_u32 v[2:3], null, s17, v7, v[1:2]
	v_add3_u32 v8, v4, v6, 0
	s_set_inst_prefetch_distance 0x1
	s_branch .LBB41_3
	.p2align	6
.LBB41_2:                               ;   in Loop: Header=BB41_3 Depth=1
	s_or_b32 exec_lo, exec_lo, s20
	v_add_nc_u32_e32 v9, 0x80, v9
	v_add_nc_u32_e32 v8, 0x400, v8
	;; [unrolled: 1-line block ×3, first 2 shown]
	s_delay_alu instid0(VALU_DEP_3) | instskip(NEXT) | instid1(VALU_DEP_1)
	v_cmp_le_i32_e64 s1, s12, v9
	s_or_b32 s5, s1, s5
	s_delay_alu instid0(SALU_CYCLE_1)
	s_and_not1_b32 exec_lo, exec_lo, s5
	s_cbranch_execz .LBB41_6
.LBB41_3:                               ; =>This Loop Header: Depth=1
                                        ;     Child Loop BB41_5 Depth 2
	s_and_saveexec_b32 s20, vcc_lo
	s_cbranch_execz .LBB41_2
; %bb.4:                                ;   in Loop: Header=BB41_3 Depth=1
	s_delay_alu instid0(VALU_DEP_2)
	v_dual_mov_b32 v3, v2 :: v_dual_mov_b32 v10, v8
	v_mov_b32_e32 v11, v7
	s_mov_b32 s22, 0
	.p2align	6
.LBB41_5:                               ;   Parent Loop BB41_3 Depth=1
                                        ; =>  This Inner Loop Header: Depth=2
	s_delay_alu instid0(VALU_DEP_2) | instskip(NEXT) | instid1(VALU_DEP_2)
	v_ashrrev_i32_e32 v4, 31, v3
	v_add_nc_u32_e32 v11, 2, v11
	s_delay_alu instid0(VALU_DEP_2) | instskip(SKIP_1) | instid1(VALU_DEP_2)
	v_lshlrev_b64 v[12:13], 3, v[3:4]
	v_add_nc_u32_e32 v3, s19, v3
	v_add_co_u32 v12, s1, s14, v12
	s_delay_alu instid0(VALU_DEP_1)
	v_add_co_ci_u32_e64 v13, s1, s16, v13, s1
	v_cmp_le_i32_e64 s1, s13, v11
	global_load_b64 v[12:13], v[12:13], off
	s_or_b32 s22, s1, s22
	s_waitcnt vmcnt(0)
	ds_store_b64 v10, v[12:13]
	v_add_nc_u32_e32 v10, s18, v10
	s_and_not1_b32 exec_lo, exec_lo, s22
	s_cbranch_execnz .LBB41_5
	s_branch .LBB41_2
.LBB41_6:
	s_set_inst_prefetch_distance 0x2
	s_or_b32 exec_lo, exec_lo, s4
	s_min_i32 s18, s13, s12
	s_waitcnt lgkmcnt(0)
	s_cmp_lt_i32 s18, 1
	s_barrier
	buffer_gl0_inv
	s_cbranch_scc1 .LBB41_44
; %bb.7:
	v_mbcnt_lo_u32_b32 v2, -1, 0
	s_mul_i32 s1, s15, s9
	s_mul_hi_u32 s4, s15, s8
	s_mul_i32 s5, s21, s8
	s_add_i32 s1, s4, s1
	v_cmp_ne_u32_e32 vcc_lo, 31, v2
	s_mul_i32 s4, s15, s8
	s_add_i32 s5, s1, s5
	s_mul_i32 s1, s15, s3
	s_lshl_b64 s[4:5], s[4:5], 2
	v_add_co_ci_u32_e32 v3, vcc_lo, 0, v2, vcc_lo
	v_cmp_gt_u32_e32 vcc_lo, 30, v2
	s_mul_hi_u32 s3, s15, s2
	s_add_u32 s19, s6, s4
	s_addc_u32 s20, s7, s5
	s_add_i32 s1, s3, s1
	v_cndmask_b32_e64 v4, 0, 1, vcc_lo
	v_cmp_gt_u32_e32 vcc_lo, 28, v2
	s_mul_i32 s3, s21, s2
	s_mul_i32 s2, s15, s2
	s_add_i32 s3, s1, s3
	v_lshlrev_b32_e32 v7, 2, v3
	v_cndmask_b32_e64 v8, 0, 1, vcc_lo
	v_cmp_gt_u32_e32 vcc_lo, 24, v2
	v_dual_mov_b32 v16, 1.0 :: v_dual_lshlrev_b32 v3, 1, v4
	s_lshl_b64 s[2:3], s[2:3], 3
	s_delay_alu instid0(VALU_DEP_3)
	v_lshlrev_b32_e32 v4, 2, v8
	v_cndmask_b32_e64 v9, 0, 1, vcc_lo
	v_cmp_gt_u32_e32 vcc_lo, 16, v2
	s_mul_i32 s1, s13, s12
	s_add_u32 s15, s10, s2
	s_addc_u32 s21, s11, s3
	v_lshlrev_b32_e32 v11, 3, v9
	v_cndmask_b32_e64 v10, 0, 1, vcc_lo
	s_lshl_b32 s1, s1, 3
	v_add_lshl_u32 v8, v3, v2, 2
	v_add_lshl_u32 v9, v4, v2, 2
	s_add_i32 s22, s1, 0
	v_lshlrev_b32_e32 v12, 4, v10
	v_add_lshl_u32 v10, v11, v2, 2
	s_lshl_b32 s1, s13, 3
	v_and_b32_e32 v13, 31, v0
	s_add_i32 s23, s22, s1
	v_add_lshl_u32 v11, v12, v2, 2
	v_mad_u64_u32 v[2:3], null, s12, v0, s[12:13]
	v_lshrrev_b32_e32 v4, 2, v0
	v_lshlrev_b32_e32 v3, 3, v0
	s_cmp_lg_u64 s[6:7], 0
	v_cmp_eq_u32_e64 s1, 0, v13
	s_cselect_b32 s7, -1, 0
	s_lshl_b32 s24, s12, 3
	v_cmp_eq_u32_e64 s2, 0, v0
	v_add3_u32 v12, v3, 0, 8
	v_lshl_add_u32 v13, v2, 3, 0
	v_add3_u32 v14, 0, s24, v3
	v_dual_mov_b32 v2, 0 :: v_dual_add_nc_u32 v15, s23, v4
	s_mov_b32 s9, 0
	s_add_i32 s25, s24, 8
	s_lshl_b32 s26, s12, 11
	s_mov_b32 s27, 0
	s_mov_b32 s8, s9
	s_branch .LBB41_9
.LBB41_8:                               ;   in Loop: Header=BB41_9 Depth=1
	s_set_inst_prefetch_distance 0x2
	s_or_b32 exec_lo, exec_lo, s4
	v_add_nc_u32_e32 v12, s25, v12
	v_add_nc_u32_e32 v13, s25, v13
	;; [unrolled: 1-line block ×3, first 2 shown]
	s_add_i32 s8, s8, 1
	s_add_i32 s27, s27, s25
	s_cmp_eq_u32 s8, s18
	s_waitcnt lgkmcnt(0)
	s_barrier
	buffer_gl0_inv
	s_cbranch_scc1 .LBB41_44
.LBB41_9:                               ; =>This Loop Header: Depth=1
                                        ;     Child Loop BB41_11 Depth 2
                                        ;     Child Loop BB41_30 Depth 2
	;; [unrolled: 1-line block ×3, first 2 shown]
                                        ;       Child Loop BB41_36 Depth 3
                                        ;     Child Loop BB41_40 Depth 2
                                        ;       Child Loop BB41_42 Depth 3
	s_sub_i32 s28, s12, s8
	v_dual_mov_b32 v3, 0 :: v_dual_mov_b32 v4, 0
	s_add_i32 s30, s28, -1
	s_delay_alu instid0(SALU_CYCLE_1) | instskip(NEXT) | instid1(VALU_DEP_1)
	v_cmp_gt_i32_e64 s3, s30, v0
	s_and_saveexec_b32 s4, s3
	s_cbranch_execz .LBB41_13
; %bb.10:                               ;   in Loop: Header=BB41_9 Depth=1
	v_dual_mov_b32 v3, 0 :: v_dual_mov_b32 v18, v0
	v_dual_mov_b32 v17, v12 :: v_dual_mov_b32 v4, 0
	s_mov_b32 s5, 0
	.p2align	6
.LBB41_11:                              ;   Parent Loop BB41_9 Depth=1
                                        ; =>  This Inner Loop Header: Depth=2
	ds_load_b64 v[19:20], v17
	v_add_nc_u32_e32 v18, 0x100, v18
	v_add_nc_u32_e32 v17, 0x800, v17
	s_delay_alu instid0(VALU_DEP_2) | instskip(SKIP_4) | instid1(VALU_DEP_2)
	v_cmp_le_i32_e32 vcc_lo, s30, v18
	s_or_b32 s5, vcc_lo, s5
	s_waitcnt lgkmcnt(0)
	v_mul_f32_e32 v21, v20, v20
	v_mul_f32_e32 v22, v20, v19
	v_fmac_f32_e32 v21, v19, v19
	s_delay_alu instid0(VALU_DEP_2) | instskip(NEXT) | instid1(VALU_DEP_1)
	v_fma_f32 v19, v19, v20, -v22
	v_dual_add_f32 v4, v4, v21 :: v_dual_add_f32 v3, v3, v19
	s_and_not1_b32 exec_lo, exec_lo, s5
	s_cbranch_execnz .LBB41_11
; %bb.12:                               ;   in Loop: Header=BB41_9 Depth=1
	s_or_b32 exec_lo, exec_lo, s5
.LBB41_13:                              ;   in Loop: Header=BB41_9 Depth=1
	s_delay_alu instid0(SALU_CYCLE_1)
	s_or_b32 exec_lo, exec_lo, s4
	ds_bpermute_b32 v17, v7, v4
	ds_bpermute_b32 v18, v7, v3
	s_waitcnt lgkmcnt(0)
	v_dual_add_f32 v4, v4, v17 :: v_dual_add_f32 v3, v3, v18
	ds_bpermute_b32 v17, v8, v4
	ds_bpermute_b32 v18, v8, v3
	s_waitcnt lgkmcnt(0)
	v_dual_add_f32 v4, v4, v17 :: v_dual_add_f32 v3, v3, v18
	;; [unrolled: 4-line block ×4, first 2 shown]
	ds_bpermute_b32 v3, v11, v19
	ds_bpermute_b32 v17, v11, v4
	s_waitcnt lgkmcnt(1)
	v_add_f32_e32 v3, v19, v3
	s_and_saveexec_b32 s4, s1
	s_cbranch_execz .LBB41_15
; %bb.14:                               ;   in Loop: Header=BB41_9 Depth=1
	s_waitcnt lgkmcnt(0)
	v_add_f32_e32 v4, v4, v17
	ds_store_2addr_b32 v15, v3, v4 offset0:2 offset1:3
.LBB41_15:                              ;   in Loop: Header=BB41_9 Depth=1
	s_or_b32 exec_lo, exec_lo, s4
	s_lshl_b32 s4, s8, 3
	s_mul_i32 s5, s8, s12
	s_add_i32 s29, s4, 0
	s_lshl_b32 s4, s5, 3
	s_waitcnt lgkmcnt(0)
	s_add_i32 s29, s29, s4
	s_barrier
	buffer_gl0_inv
	s_and_saveexec_b32 s31, s2
	s_cbranch_execz .LBB41_28
; %bb.16:                               ;   in Loop: Header=BB41_9 Depth=1
	v_mov_b32_e32 v4, s23
	s_lshl_b64 s[4:5], s[8:9], 2
	s_mov_b32 s34, 0
	s_add_u32 s10, s19, s4
	s_addc_u32 s11, s20, s5
	ds_load_2addr_b32 v[17:18], v4 offset0:4 offset1:6
	ds_load_2addr_b32 v[19:20], v4 offset0:8 offset1:10
	s_mov_b32 s6, exec_lo
                                        ; implicit-def: $sgpr4
                                        ; implicit-def: $sgpr5
                                        ; implicit-def: $sgpr33
                                        ; implicit-def: $sgpr35
	s_waitcnt lgkmcnt(1)
	v_add_f32_e32 v3, v3, v17
	ds_load_2addr_b32 v[21:22], v4 offset0:12 offset1:14
	v_add_f32_e32 v3, v3, v18
	s_waitcnt lgkmcnt(1)
	s_delay_alu instid0(VALU_DEP_1) | instskip(SKIP_4) | instid1(VALU_DEP_1)
	v_dual_mov_b32 v17, s29 :: v_dual_add_f32 v18, v3, v19
	ds_load_b32 v4, v4 offset:64
	ds_load_b32 v3, v17 offset:4
	v_add_f32_e32 v17, v18, v20
	s_waitcnt lgkmcnt(2)
	v_add_f32_e32 v17, v17, v21
	s_delay_alu instid0(VALU_DEP_1) | instskip(SKIP_1) | instid1(VALU_DEP_1)
	v_add_f32_e32 v17, v17, v22
	s_waitcnt lgkmcnt(0)
	v_dual_add_f32 v17, v17, v4 :: v_dual_mul_f32 v4, v3, v3
	s_delay_alu instid0(VALU_DEP_1) | instskip(NEXT) | instid1(VALU_DEP_1)
	v_max_f32_e32 v18, v17, v4
	v_cmpx_nlt_f32_e32 0, v18
	s_xor_b32 s6, exec_lo, s6
	s_cbranch_execz .LBB41_20
; %bb.17:                               ;   in Loop: Header=BB41_9 Depth=1
	v_dual_mov_b32 v3, v2 :: v_dual_mov_b32 v4, s23
	s_mov_b32 s33, 0
	s_and_b32 vcc_lo, exec_lo, s7
                                        ; implicit-def: $sgpr4
                                        ; implicit-def: $sgpr5
	ds_store_b64 v4, v[2:3]
	s_cbranch_vccz .LBB41_19
; %bb.18:                               ;   in Loop: Header=BB41_9 Depth=1
	v_mov_b32_e32 v3, s29
	s_mov_b32 s34, -1
	s_mov_b32 s5, 1.0
	s_mov_b32 s4, 0
	ds_load_b32 v4, v3
	ds_store_b32 v3, v16
	s_waitcnt lgkmcnt(1)
	global_store_b32 v2, v4, s[10:11]
.LBB41_19:                              ;   in Loop: Header=BB41_9 Depth=1
	s_mov_b32 s35, 1.0
	s_and_b32 s34, s34, exec_lo
                                        ; implicit-def: $vgpr4
                                        ; implicit-def: $vgpr17
                                        ; implicit-def: $vgpr3
.LBB41_20:                              ;   in Loop: Header=BB41_9 Depth=1
	s_or_saveexec_b32 s36, s6
	v_dual_mov_b32 v18, s4 :: v_dual_mov_b32 v19, s5
	s_xor_b32 exec_lo, exec_lo, s36
	s_cbranch_execz .LBB41_25
; %bb.21:                               ;   in Loop: Header=BB41_9 Depth=1
	v_mov_b32_e32 v18, s29
	ds_load_b32 v18, v18
	s_waitcnt lgkmcnt(0)
	v_fma_f32 v19, v18, v18, v4
	s_delay_alu instid0(VALU_DEP_1) | instskip(NEXT) | instid1(VALU_DEP_1)
	v_add_f32_e32 v17, v17, v19
	v_mul_f32_e32 v19, 0x4f800000, v17
	v_cmp_gt_f32_e32 vcc_lo, 0xf800000, v17
	s_delay_alu instid0(VALU_DEP_2) | instskip(NEXT) | instid1(VALU_DEP_1)
	v_cndmask_b32_e32 v17, v17, v19, vcc_lo
	v_sqrt_f32_e32 v19, v17
	s_waitcnt_depctr 0xfff
	v_add_nc_u32_e32 v20, -1, v19
	v_add_nc_u32_e32 v21, 1, v19
	s_delay_alu instid0(VALU_DEP_2) | instskip(NEXT) | instid1(VALU_DEP_2)
	v_fma_f32 v22, -v20, v19, v17
	v_fma_f32 v23, -v21, v19, v17
	s_delay_alu instid0(VALU_DEP_2) | instskip(NEXT) | instid1(VALU_DEP_1)
	v_cmp_ge_f32_e64 s4, 0, v22
	v_cndmask_b32_e64 v19, v19, v20, s4
	s_delay_alu instid0(VALU_DEP_3) | instskip(NEXT) | instid1(VALU_DEP_1)
	v_cmp_lt_f32_e64 s4, 0, v23
	v_cndmask_b32_e64 v19, v19, v21, s4
	s_delay_alu instid0(VALU_DEP_1) | instskip(NEXT) | instid1(VALU_DEP_1)
	v_mul_f32_e32 v20, 0x37800000, v19
	v_cndmask_b32_e32 v19, v19, v20, vcc_lo
	v_cmp_class_f32_e64 vcc_lo, v17, 0x260
	s_delay_alu instid0(VALU_DEP_2) | instskip(SKIP_1) | instid1(VALU_DEP_2)
	v_cndmask_b32_e32 v17, v19, v17, vcc_lo
	v_cmp_le_f32_e32 vcc_lo, 0, v18
	v_cndmask_b32_e64 v17, v17, -v17, vcc_lo
	s_delay_alu instid0(VALU_DEP_1) | instskip(SKIP_2) | instid1(VALU_DEP_3)
	v_dual_sub_f32 v19, v18, v17 :: v_dual_sub_f32 v18, v17, v18
	v_div_scale_f32 v20, null, v17, v17, -v3
	v_div_scale_f32 v28, s4, -v3, v17, -v3
	v_div_scale_f32 v21, null, v17, v17, v18
	s_delay_alu instid0(VALU_DEP_3) | instskip(SKIP_1) | instid1(VALU_DEP_2)
	v_rcp_f32_e32 v24, v20
	v_div_scale_f32 v29, s5, v18, v17, v18
	v_rcp_f32_e32 v25, v21
	s_waitcnt_depctr 0xfff
	v_fma_f32 v31, -v20, v24, 1.0
	v_fma_f32 v32, -v21, v25, 1.0
	v_fmac_f32_e32 v4, v19, v19
	s_delay_alu instid0(VALU_DEP_2) | instskip(NEXT) | instid1(VALU_DEP_2)
	v_dual_fmac_f32 v24, v31, v24 :: v_dual_fmac_f32 v25, v32, v25
	v_div_scale_f32 v22, null, v4, v4, v19
	v_div_scale_f32 v23, null, v4, v4, -v3
	v_div_scale_f32 v30, vcc_lo, v19, v4, v19
	s_delay_alu instid0(VALU_DEP_3) | instskip(NEXT) | instid1(VALU_DEP_2)
	v_rcp_f32_e32 v26, v22
	v_rcp_f32_e32 v27, v23
	v_div_scale_f32 v35, s6, -v3, v4, -v3
	s_waitcnt_depctr 0xfff
	v_fma_f32 v33, -v22, v26, 1.0
	v_fma_f32 v34, -v23, v27, 1.0
	s_delay_alu instid0(VALU_DEP_2) | instskip(NEXT) | instid1(VALU_DEP_1)
	v_fmac_f32_e32 v26, v33, v26
	v_mul_f32_e32 v32, v30, v26
	s_delay_alu instid0(VALU_DEP_1) | instskip(NEXT) | instid1(VALU_DEP_1)
	v_fma_f32 v37, -v22, v32, v30
	v_dual_fmac_f32 v27, v34, v27 :: v_dual_fmac_f32 v32, v37, v26
	s_delay_alu instid0(VALU_DEP_1) | instskip(NEXT) | instid1(VALU_DEP_2)
	v_dual_mul_f32 v31, v28, v24 :: v_dual_mul_f32 v34, v35, v27
	v_fma_f32 v22, -v22, v32, v30
	s_delay_alu instid0(VALU_DEP_2) | instskip(NEXT) | instid1(VALU_DEP_3)
	v_fma_f32 v36, -v20, v31, v28
	v_fma_f32 v39, -v23, v34, v35
	v_mul_f32_e32 v33, v29, v25
	s_delay_alu instid0(VALU_DEP_4) | instskip(NEXT) | instid1(VALU_DEP_3)
	v_div_fmas_f32 v22, v22, v26, v32
	v_dual_fmac_f32 v31, v36, v24 :: v_dual_fmac_f32 v34, v39, v27
	s_delay_alu instid0(VALU_DEP_3) | instskip(SKIP_1) | instid1(VALU_DEP_3)
	v_fma_f32 v38, -v21, v33, v29
	s_mov_b32 vcc_lo, s6
	v_div_fixup_f32 v19, v22, v4, v19
	s_delay_alu instid0(VALU_DEP_3) | instskip(SKIP_2) | instid1(VALU_DEP_2)
	v_fma_f32 v20, -v20, v31, v28
	v_fma_f32 v23, -v23, v34, v35
	v_fmac_f32_e32 v33, v38, v25
	v_div_fmas_f32 v23, v23, v27, v34
	s_delay_alu instid0(VALU_DEP_2) | instskip(SKIP_1) | instid1(VALU_DEP_1)
	v_fma_f32 v21, -v21, v33, v29
	s_mov_b32 vcc_lo, s5
	v_div_fmas_f32 v21, v21, v25, v33
	s_mov_b32 vcc_lo, s4
	v_mov_b32_e32 v25, s23
	v_div_fmas_f32 v24, v20, v24, v31
	s_and_b32 vcc_lo, exec_lo, s7
	v_div_fixup_f32 v20, v21, v17, v18
	v_div_fixup_f32 v18, v23, v4, -v3
	s_delay_alu instid0(VALU_DEP_3)
	v_div_fixup_f32 v21, v24, v17, -v3
	ds_store_b64 v25, v[20:21]
	s_cbranch_vccz .LBB41_43
; %bb.22:                               ;   in Loop: Header=BB41_9 Depth=1
	v_mov_b32_e32 v3, s29
	global_store_b32 v2, v17, s[10:11]
	ds_store_b32 v3, v16
	s_cbranch_execnz .LBB41_24
.LBB41_23:                              ;   in Loop: Header=BB41_9 Depth=1
	v_mov_b32_e32 v3, s29
	ds_store_b32 v3, v17
.LBB41_24:                              ;   in Loop: Header=BB41_9 Depth=1
	s_or_b32 s34, s34, exec_lo
.LBB41_25:                              ;   in Loop: Header=BB41_9 Depth=1
	s_or_b32 exec_lo, exec_lo, s36
	v_dual_mov_b32 v3, s35 :: v_dual_mov_b32 v4, s33
	s_and_saveexec_b32 s4, s34
	s_cbranch_execz .LBB41_27
; %bb.26:                               ;   in Loop: Header=BB41_9 Depth=1
	v_dual_mov_b32 v17, s29 :: v_dual_mov_b32 v4, v18
	v_mov_b32_e32 v3, v19
	ds_store_b32 v17, v2 offset:4
.LBB41_27:                              ;   in Loop: Header=BB41_9 Depth=1
	s_or_b32 exec_lo, exec_lo, s4
	v_mov_b32_e32 v19, s23
	s_lshl_b64 s[4:5], s[8:9], 3
	s_delay_alu instid0(SALU_CYCLE_1)
	s_add_u32 s4, s15, s4
	s_addc_u32 s5, s21, s5
	ds_load_b64 v[17:18], v19
	s_waitcnt lgkmcnt(0)
	global_store_b64 v2, v[17:18], s[4:5]
	v_xor_b32_e32 v18, 0x80000000, v18
	ds_store_2addr_b64 v19, v[17:18], v[3:4] offset1:1
.LBB41_28:                              ;   in Loop: Header=BB41_9 Depth=1
	s_or_b32 exec_lo, exec_lo, s31
	s_waitcnt lgkmcnt(0)
	s_waitcnt_vscnt null, 0x0
	s_barrier
	buffer_gl0_inv
	s_and_saveexec_b32 s4, s3
	s_cbranch_execz .LBB41_31
; %bb.29:                               ;   in Loop: Header=BB41_9 Depth=1
	v_mov_b32_e32 v3, v0
	s_mov_b32 s3, 0
	s_mov_b32 s5, 0
	.p2align	6
.LBB41_30:                              ;   Parent Loop BB41_9 Depth=1
                                        ; =>  This Inner Loop Header: Depth=2
	s_delay_alu instid0(VALU_DEP_1)
	v_dual_mov_b32 v4, s23 :: v_dual_add_nc_u32 v3, 0x100, v3
	v_add_nc_u32_e32 v22, s5, v12
	s_addk_i32 s5, 0x800
	ds_load_b64 v[17:18], v4 offset:8
	ds_load_b64 v[19:20], v22
	v_cmp_le_i32_e32 vcc_lo, s30, v3
	s_or_b32 s3, vcc_lo, s3
	s_waitcnt lgkmcnt(0)
	v_mul_f32_e32 v4, v18, v20
	v_mul_f32_e32 v21, v17, v20
	s_delay_alu instid0(VALU_DEP_2) | instskip(NEXT) | instid1(VALU_DEP_2)
	v_fma_f32 v20, v17, v19, -v4
	v_fmac_f32_e32 v21, v18, v19
	ds_store_b64 v22, v[20:21]
	s_and_not1_b32 exec_lo, exec_lo, s3
	s_cbranch_execnz .LBB41_30
.LBB41_31:                              ;   in Loop: Header=BB41_9 Depth=1
	s_or_b32 exec_lo, exec_lo, s4
	s_not_b32 s3, s8
	s_mov_b32 s4, exec_lo
	s_add_i32 s3, s3, s13
	s_waitcnt lgkmcnt(0)
	s_barrier
	buffer_gl0_inv
	v_cmpx_gt_i32_e64 s3, v0
	s_cbranch_execz .LBB41_37
; %bb.32:                               ;   in Loop: Header=BB41_9 Depth=1
	v_dual_mov_b32 v3, v13 :: v_dual_mov_b32 v4, v0
	s_cmp_gt_i32 s28, 0
	s_mov_b32 s5, 0
	s_cselect_b32 s6, -1, 0
	s_set_inst_prefetch_distance 0x1
	s_branch .LBB41_34
	.p2align	6
.LBB41_33:                              ;   in Loop: Header=BB41_34 Depth=2
	v_mov_b32_e32 v19, s23
	v_lshl_add_u32 v22, v4, 3, s22
	v_add_nc_u32_e32 v4, 0x100, v4
	v_add_nc_u32_e32 v3, s26, v3
	ds_load_b64 v[19:20], v19
	v_cmp_le_i32_e32 vcc_lo, s3, v4
	s_or_b32 s5, vcc_lo, s5
	s_waitcnt lgkmcnt(0)
	v_mul_f32_e32 v23, v17, v20
	v_mul_f32_e32 v21, v18, v20
	s_delay_alu instid0(VALU_DEP_2) | instskip(NEXT) | instid1(VALU_DEP_2)
	v_fma_f32 v20, v18, v19, -v23
	v_fmac_f32_e32 v21, v17, v19
	ds_store_b64 v22, v[20:21]
	s_and_not1_b32 exec_lo, exec_lo, s5
	s_cbranch_execz .LBB41_37
.LBB41_34:                              ;   Parent Loop BB41_9 Depth=1
                                        ; =>  This Loop Header: Depth=2
                                        ;       Child Loop BB41_36 Depth 3
	v_dual_mov_b32 v17, 0 :: v_dual_mov_b32 v18, 0
	s_and_not1_b32 vcc_lo, exec_lo, s6
	s_cbranch_vccnz .LBB41_33
; %bb.35:                               ;   in Loop: Header=BB41_34 Depth=2
	v_dual_mov_b32 v17, 0 :: v_dual_mov_b32 v18, 0
	v_mov_b32_e32 v19, v3
	s_mov_b32 s10, 0
	s_mov_b32 s11, s27
	.p2align	6
.LBB41_36:                              ;   Parent Loop BB41_9 Depth=1
                                        ;     Parent Loop BB41_34 Depth=2
                                        ; =>    This Inner Loop Header: Depth=3
	s_delay_alu instid0(SALU_CYCLE_1)
	v_mov_b32_e32 v22, s11
	s_add_i32 s10, s10, 1
	s_add_i32 s11, s11, 8
	s_cmp_ge_i32 s10, s28
	ds_load_b64 v[20:21], v19
	ds_load_b64 v[22:23], v22
	s_waitcnt lgkmcnt(0)
	v_dual_mul_f32 v24, v23, v21 :: v_dual_add_nc_u32 v19, 8, v19
	v_mul_f32_e32 v23, v23, v20
	s_delay_alu instid0(VALU_DEP_2) | instskip(NEXT) | instid1(VALU_DEP_2)
	v_fmac_f32_e32 v24, v22, v20
	v_fma_f32 v20, v22, v21, -v23
	s_delay_alu instid0(VALU_DEP_2) | instskip(NEXT) | instid1(VALU_DEP_2)
	v_add_f32_e32 v18, v18, v24
	v_add_f32_e32 v17, v17, v20
	s_cbranch_scc0 .LBB41_36
	s_branch .LBB41_33
.LBB41_37:                              ;   in Loop: Header=BB41_9 Depth=1
	s_set_inst_prefetch_distance 0x2
	s_or_b32 exec_lo, exec_lo, s4
	s_delay_alu instid0(SALU_CYCLE_1)
	s_mov_b32 s4, exec_lo
	s_waitcnt lgkmcnt(0)
	s_barrier
	buffer_gl0_inv
	v_cmpx_gt_i32_e64 s28, v0
	s_cbranch_execz .LBB41_8
; %bb.38:                               ;   in Loop: Header=BB41_9 Depth=1
	v_dual_mov_b32 v3, v14 :: v_dual_mov_b32 v4, v0
	s_cmp_gt_i32 s3, 0
	s_mov_b32 s5, 0
	s_cselect_b32 s6, -1, 0
	s_set_inst_prefetch_distance 0x1
	s_branch .LBB41_40
	.p2align	6
.LBB41_39:                              ;   in Loop: Header=BB41_40 Depth=2
	v_add_nc_u32_e32 v4, 0x100, v4
	v_add_nc_u32_e32 v3, 0x800, v3
	s_delay_alu instid0(VALU_DEP_2) | instskip(SKIP_1) | instid1(SALU_CYCLE_1)
	v_cmp_le_i32_e32 vcc_lo, s28, v4
	s_or_b32 s5, vcc_lo, s5
	s_and_not1_b32 exec_lo, exec_lo, s5
	s_cbranch_execz .LBB41_8
.LBB41_40:                              ;   Parent Loop BB41_9 Depth=1
                                        ; =>  This Loop Header: Depth=2
                                        ;       Child Loop BB41_42 Depth 3
	s_and_not1_b32 vcc_lo, exec_lo, s6
	s_cbranch_vccnz .LBB41_39
; %bb.41:                               ;   in Loop: Header=BB41_40 Depth=2
	v_lshl_add_u32 v17, v4, 3, s29
	v_mov_b32_e32 v18, v3
	s_mov_b32 s10, 0
	s_mov_b32 s11, s22
	.p2align	6
.LBB41_42:                              ;   Parent Loop BB41_9 Depth=1
                                        ;     Parent Loop BB41_40 Depth=2
                                        ; =>    This Inner Loop Header: Depth=3
	s_delay_alu instid0(SALU_CYCLE_1)
	v_mov_b32_e32 v21, s11
	s_add_i32 s10, s10, 1
	s_add_i32 s11, s11, 8
	s_cmp_ge_i32 s10, s3
	ds_load_b64 v[19:20], v17
	ds_load_b64 v[21:22], v21
	ds_load_b64 v[23:24], v18
	s_waitcnt lgkmcnt(1)
	v_mul_f32_e32 v25, v22, v20
	v_mul_f32_e32 v20, v21, v20
	s_delay_alu instid0(VALU_DEP_2) | instskip(SKIP_1) | instid1(VALU_DEP_1)
	v_fma_f32 v21, v21, v19, -v25
	s_waitcnt lgkmcnt(0)
	v_dual_fmac_f32 v20, v22, v19 :: v_dual_sub_f32 v19, v23, v21
	s_delay_alu instid0(VALU_DEP_1)
	v_sub_f32_e32 v20, v24, v20
	ds_store_b64 v18, v[19:20]
	v_add_nc_u32_e32 v18, s24, v18
	s_cbranch_scc0 .LBB41_42
	s_branch .LBB41_39
.LBB41_43:                              ;   in Loop: Header=BB41_9 Depth=1
	s_branch .LBB41_23
.LBB41_44:
	s_and_saveexec_b32 s1, s0
	s_cbranch_execz .LBB41_50
; %bb.45:
	v_mul_lo_u32 v0, s12, v5
	v_mad_u64_u32 v[2:3], null, s17, v5, v[1:2]
	v_cmp_gt_i32_e32 vcc_lo, s13, v5
	s_lshl_b32 s2, s17, 1
	s_mov_b32 s3, 0
	s_lshl_b32 s4, s12, 4
	s_delay_alu instid0(VALU_DEP_3) | instskip(NEXT) | instid1(VALU_DEP_1)
	v_lshlrev_b32_e32 v0, 3, v0
	v_add3_u32 v0, v0, v6, 0
	s_set_inst_prefetch_distance 0x1
	s_branch .LBB41_47
	.p2align	6
.LBB41_46:                              ;   in Loop: Header=BB41_47 Depth=1
	s_or_b32 exec_lo, exec_lo, s5
	v_add_nc_u32_e32 v1, 0x80, v1
	v_add_nc_u32_e32 v2, 0x80, v2
	;; [unrolled: 1-line block ×3, first 2 shown]
	s_delay_alu instid0(VALU_DEP_3) | instskip(NEXT) | instid1(VALU_DEP_1)
	v_cmp_le_i32_e64 s0, s12, v1
	s_or_b32 s3, s0, s3
	s_delay_alu instid0(SALU_CYCLE_1)
	s_and_not1_b32 exec_lo, exec_lo, s3
	s_cbranch_execz .LBB41_50
.LBB41_47:                              ; =>This Loop Header: Depth=1
                                        ;     Child Loop BB41_49 Depth 2
	s_and_saveexec_b32 s5, vcc_lo
	s_cbranch_execz .LBB41_46
; %bb.48:                               ;   in Loop: Header=BB41_47 Depth=1
	v_dual_mov_b32 v6, v0 :: v_dual_mov_b32 v3, v2
	v_mov_b32_e32 v7, v5
	s_mov_b32 s6, 0
	.p2align	6
.LBB41_49:                              ;   Parent Loop BB41_47 Depth=1
                                        ; =>  This Inner Loop Header: Depth=2
	ds_load_b64 v[8:9], v6
	v_ashrrev_i32_e32 v4, 31, v3
	v_add_nc_u32_e32 v7, 2, v7
	v_add_nc_u32_e32 v6, s4, v6
	s_delay_alu instid0(VALU_DEP_3) | instskip(NEXT) | instid1(VALU_DEP_3)
	v_lshlrev_b64 v[10:11], 3, v[3:4]
	v_cmp_le_i32_e64 s0, s13, v7
	v_add_nc_u32_e32 v3, s2, v3
	s_delay_alu instid0(VALU_DEP_2) | instskip(NEXT) | instid1(VALU_DEP_3)
	s_or_b32 s6, s0, s6
	v_add_co_u32 v10, s1, s14, v10
	s_delay_alu instid0(VALU_DEP_1)
	v_add_co_ci_u32_e64 v11, s1, s16, v11, s1
	s_waitcnt lgkmcnt(0)
	global_store_b64 v[10:11], v[8:9], off
	s_and_not1_b32 exec_lo, exec_lo, s6
	s_cbranch_execnz .LBB41_49
	s_branch .LBB41_46
.LBB41_50:
	s_set_inst_prefetch_distance 0x2
	s_nop 0
	s_sendmsg sendmsg(MSG_DEALLOC_VGPRS)
	s_endpgm
	.section	.rodata,"a",@progbits
	.p2align	6, 0x0
	.amdhsa_kernel _ZN9rocsolver6v33100L18geqr2_kernel_smallILi256E19rocblas_complex_numIfEifPS3_EEvT1_S5_T3_lS5_lPT2_lPT0_l
		.amdhsa_group_segment_fixed_size 0
		.amdhsa_private_segment_fixed_size 0
		.amdhsa_kernarg_size 72
		.amdhsa_user_sgpr_count 14
		.amdhsa_user_sgpr_dispatch_ptr 0
		.amdhsa_user_sgpr_queue_ptr 0
		.amdhsa_user_sgpr_kernarg_segment_ptr 1
		.amdhsa_user_sgpr_dispatch_id 0
		.amdhsa_user_sgpr_private_segment_size 0
		.amdhsa_wavefront_size32 1
		.amdhsa_uses_dynamic_stack 0
		.amdhsa_enable_private_segment 0
		.amdhsa_system_sgpr_workgroup_id_x 1
		.amdhsa_system_sgpr_workgroup_id_y 0
		.amdhsa_system_sgpr_workgroup_id_z 1
		.amdhsa_system_sgpr_workgroup_info 0
		.amdhsa_system_vgpr_workitem_id 0
		.amdhsa_next_free_vgpr 40
		.amdhsa_next_free_sgpr 37
		.amdhsa_reserve_vcc 1
		.amdhsa_float_round_mode_32 0
		.amdhsa_float_round_mode_16_64 0
		.amdhsa_float_denorm_mode_32 3
		.amdhsa_float_denorm_mode_16_64 3
		.amdhsa_dx10_clamp 1
		.amdhsa_ieee_mode 1
		.amdhsa_fp16_overflow 0
		.amdhsa_workgroup_processor_mode 1
		.amdhsa_memory_ordered 1
		.amdhsa_forward_progress 0
		.amdhsa_shared_vgpr_count 0
		.amdhsa_exception_fp_ieee_invalid_op 0
		.amdhsa_exception_fp_denorm_src 0
		.amdhsa_exception_fp_ieee_div_zero 0
		.amdhsa_exception_fp_ieee_overflow 0
		.amdhsa_exception_fp_ieee_underflow 0
		.amdhsa_exception_fp_ieee_inexact 0
		.amdhsa_exception_int_div_zero 0
	.end_amdhsa_kernel
	.section	.text._ZN9rocsolver6v33100L18geqr2_kernel_smallILi256E19rocblas_complex_numIfEifPS3_EEvT1_S5_T3_lS5_lPT2_lPT0_l,"axG",@progbits,_ZN9rocsolver6v33100L18geqr2_kernel_smallILi256E19rocblas_complex_numIfEifPS3_EEvT1_S5_T3_lS5_lPT2_lPT0_l,comdat
.Lfunc_end41:
	.size	_ZN9rocsolver6v33100L18geqr2_kernel_smallILi256E19rocblas_complex_numIfEifPS3_EEvT1_S5_T3_lS5_lPT2_lPT0_l, .Lfunc_end41-_ZN9rocsolver6v33100L18geqr2_kernel_smallILi256E19rocblas_complex_numIfEifPS3_EEvT1_S5_T3_lS5_lPT2_lPT0_l
                                        ; -- End function
	.section	.AMDGPU.csdata,"",@progbits
; Kernel info:
; codeLenInByte = 3024
; NumSgprs: 39
; NumVgprs: 40
; ScratchSize: 0
; MemoryBound: 0
; FloatMode: 240
; IeeeMode: 1
; LDSByteSize: 0 bytes/workgroup (compile time only)
; SGPRBlocks: 4
; VGPRBlocks: 4
; NumSGPRsForWavesPerEU: 39
; NumVGPRsForWavesPerEU: 40
; Occupancy: 16
; WaveLimiterHint : 0
; COMPUTE_PGM_RSRC2:SCRATCH_EN: 0
; COMPUTE_PGM_RSRC2:USER_SGPR: 14
; COMPUTE_PGM_RSRC2:TRAP_HANDLER: 0
; COMPUTE_PGM_RSRC2:TGID_X_EN: 1
; COMPUTE_PGM_RSRC2:TGID_Y_EN: 0
; COMPUTE_PGM_RSRC2:TGID_Z_EN: 1
; COMPUTE_PGM_RSRC2:TIDIG_COMP_CNT: 0
	.section	.text._ZN9rocsolver6v33100L16reset_batch_infoI19rocblas_complex_numIfEiiPS3_EEvT2_lT0_T1_,"axG",@progbits,_ZN9rocsolver6v33100L16reset_batch_infoI19rocblas_complex_numIfEiiPS3_EEvT2_lT0_T1_,comdat
	.globl	_ZN9rocsolver6v33100L16reset_batch_infoI19rocblas_complex_numIfEiiPS3_EEvT2_lT0_T1_ ; -- Begin function _ZN9rocsolver6v33100L16reset_batch_infoI19rocblas_complex_numIfEiiPS3_EEvT2_lT0_T1_
	.p2align	8
	.type	_ZN9rocsolver6v33100L16reset_batch_infoI19rocblas_complex_numIfEiiPS3_EEvT2_lT0_T1_,@function
_ZN9rocsolver6v33100L16reset_batch_infoI19rocblas_complex_numIfEiiPS3_EEvT2_lT0_T1_: ; @_ZN9rocsolver6v33100L16reset_batch_infoI19rocblas_complex_numIfEiiPS3_EEvT2_lT0_T1_
; %bb.0:
	s_clause 0x1
	s_load_b32 s4, s[0:1], 0x24
	s_load_b64 s[2:3], s[0:1], 0x10
	s_waitcnt lgkmcnt(0)
	s_and_b32 s4, s4, 0xffff
	s_delay_alu instid0(SALU_CYCLE_1) | instskip(NEXT) | instid1(VALU_DEP_1)
	v_mad_u64_u32 v[1:2], null, s14, s4, v[0:1]
	v_cmp_gt_i32_e32 vcc_lo, s2, v1
	s_and_saveexec_b32 s2, vcc_lo
	s_cbranch_execz .LBB42_2
; %bb.1:
	s_load_b128 s[4:7], s[0:1], 0x0
	v_ashrrev_i32_e32 v2, 31, v1
	s_ashr_i32 s0, s15, 31
	v_mov_b32_e32 v3, 0
	s_delay_alu instid0(VALU_DEP_2)
	v_lshlrev_b64 v[0:1], 3, v[1:2]
	v_cvt_f32_i32_e32 v2, s3
	s_waitcnt lgkmcnt(0)
	s_mul_i32 s1, s15, s7
	s_mul_hi_u32 s2, s15, s6
	s_mul_i32 s7, s0, s6
	s_add_i32 s1, s2, s1
	s_mul_i32 s0, s15, s6
	s_add_i32 s1, s1, s7
	s_delay_alu instid0(SALU_CYCLE_1) | instskip(NEXT) | instid1(SALU_CYCLE_1)
	s_lshl_b64 s[0:1], s[0:1], 3
	s_add_u32 s0, s4, s0
	s_addc_u32 s1, s5, s1
	v_add_co_u32 v0, vcc_lo, s0, v0
	v_add_co_ci_u32_e32 v1, vcc_lo, s1, v1, vcc_lo
	global_store_b64 v[0:1], v[2:3], off
.LBB42_2:
	s_nop 0
	s_sendmsg sendmsg(MSG_DEALLOC_VGPRS)
	s_endpgm
	.section	.rodata,"a",@progbits
	.p2align	6, 0x0
	.amdhsa_kernel _ZN9rocsolver6v33100L16reset_batch_infoI19rocblas_complex_numIfEiiPS3_EEvT2_lT0_T1_
		.amdhsa_group_segment_fixed_size 0
		.amdhsa_private_segment_fixed_size 0
		.amdhsa_kernarg_size 280
		.amdhsa_user_sgpr_count 14
		.amdhsa_user_sgpr_dispatch_ptr 0
		.amdhsa_user_sgpr_queue_ptr 0
		.amdhsa_user_sgpr_kernarg_segment_ptr 1
		.amdhsa_user_sgpr_dispatch_id 0
		.amdhsa_user_sgpr_private_segment_size 0
		.amdhsa_wavefront_size32 1
		.amdhsa_uses_dynamic_stack 0
		.amdhsa_enable_private_segment 0
		.amdhsa_system_sgpr_workgroup_id_x 1
		.amdhsa_system_sgpr_workgroup_id_y 1
		.amdhsa_system_sgpr_workgroup_id_z 0
		.amdhsa_system_sgpr_workgroup_info 0
		.amdhsa_system_vgpr_workitem_id 0
		.amdhsa_next_free_vgpr 4
		.amdhsa_next_free_sgpr 16
		.amdhsa_reserve_vcc 1
		.amdhsa_float_round_mode_32 0
		.amdhsa_float_round_mode_16_64 0
		.amdhsa_float_denorm_mode_32 3
		.amdhsa_float_denorm_mode_16_64 3
		.amdhsa_dx10_clamp 1
		.amdhsa_ieee_mode 1
		.amdhsa_fp16_overflow 0
		.amdhsa_workgroup_processor_mode 1
		.amdhsa_memory_ordered 1
		.amdhsa_forward_progress 0
		.amdhsa_shared_vgpr_count 0
		.amdhsa_exception_fp_ieee_invalid_op 0
		.amdhsa_exception_fp_denorm_src 0
		.amdhsa_exception_fp_ieee_div_zero 0
		.amdhsa_exception_fp_ieee_overflow 0
		.amdhsa_exception_fp_ieee_underflow 0
		.amdhsa_exception_fp_ieee_inexact 0
		.amdhsa_exception_int_div_zero 0
	.end_amdhsa_kernel
	.section	.text._ZN9rocsolver6v33100L16reset_batch_infoI19rocblas_complex_numIfEiiPS3_EEvT2_lT0_T1_,"axG",@progbits,_ZN9rocsolver6v33100L16reset_batch_infoI19rocblas_complex_numIfEiiPS3_EEvT2_lT0_T1_,comdat
.Lfunc_end42:
	.size	_ZN9rocsolver6v33100L16reset_batch_infoI19rocblas_complex_numIfEiiPS3_EEvT2_lT0_T1_, .Lfunc_end42-_ZN9rocsolver6v33100L16reset_batch_infoI19rocblas_complex_numIfEiiPS3_EEvT2_lT0_T1_
                                        ; -- End function
	.section	.AMDGPU.csdata,"",@progbits
; Kernel info:
; codeLenInByte = 168
; NumSgprs: 18
; NumVgprs: 4
; ScratchSize: 0
; MemoryBound: 0
; FloatMode: 240
; IeeeMode: 1
; LDSByteSize: 0 bytes/workgroup (compile time only)
; SGPRBlocks: 2
; VGPRBlocks: 0
; NumSGPRsForWavesPerEU: 18
; NumVGPRsForWavesPerEU: 4
; Occupancy: 16
; WaveLimiterHint : 0
; COMPUTE_PGM_RSRC2:SCRATCH_EN: 0
; COMPUTE_PGM_RSRC2:USER_SGPR: 14
; COMPUTE_PGM_RSRC2:TRAP_HANDLER: 0
; COMPUTE_PGM_RSRC2:TGID_X_EN: 1
; COMPUTE_PGM_RSRC2:TGID_Y_EN: 1
; COMPUTE_PGM_RSRC2:TGID_Z_EN: 0
; COMPUTE_PGM_RSRC2:TIDIG_COMP_CNT: 0
	.section	.text._ZN9rocsolver6v33100L8set_diagI19rocblas_complex_numIfEifPS3_TnNSt9enable_ifIXaa18rocblas_is_complexIT_Ent18rocblas_is_complexIT1_EEiE4typeELi0EEEvPS7_llT2_lT0_lSC_b,"axG",@progbits,_ZN9rocsolver6v33100L8set_diagI19rocblas_complex_numIfEifPS3_TnNSt9enable_ifIXaa18rocblas_is_complexIT_Ent18rocblas_is_complexIT1_EEiE4typeELi0EEEvPS7_llT2_lT0_lSC_b,comdat
	.globl	_ZN9rocsolver6v33100L8set_diagI19rocblas_complex_numIfEifPS3_TnNSt9enable_ifIXaa18rocblas_is_complexIT_Ent18rocblas_is_complexIT1_EEiE4typeELi0EEEvPS7_llT2_lT0_lSC_b ; -- Begin function _ZN9rocsolver6v33100L8set_diagI19rocblas_complex_numIfEifPS3_TnNSt9enable_ifIXaa18rocblas_is_complexIT_Ent18rocblas_is_complexIT1_EEiE4typeELi0EEEvPS7_llT2_lT0_lSC_b
	.p2align	8
	.type	_ZN9rocsolver6v33100L8set_diagI19rocblas_complex_numIfEifPS3_TnNSt9enable_ifIXaa18rocblas_is_complexIT_Ent18rocblas_is_complexIT1_EEiE4typeELi0EEEvPS7_llT2_lT0_lSC_b,@function
_ZN9rocsolver6v33100L8set_diagI19rocblas_complex_numIfEifPS3_TnNSt9enable_ifIXaa18rocblas_is_complexIT_Ent18rocblas_is_complexIT1_EEiE4typeELi0EEEvPS7_llT2_lT0_lSC_b: ; @_ZN9rocsolver6v33100L8set_diagI19rocblas_complex_numIfEifPS3_TnNSt9enable_ifIXaa18rocblas_is_complexIT_Ent18rocblas_is_complexIT1_EEiE4typeELi0EEEvPS7_llT2_lT0_lSC_b
; %bb.0:
	s_clause 0x1
	s_load_b32 s4, s[0:1], 0x4c
	s_load_b64 s[2:3], s[0:1], 0x38
	v_bfe_u32 v2, v0, 10, 10
	s_waitcnt lgkmcnt(0)
	s_lshr_b32 s4, s4, 16
	s_delay_alu instid0(VALU_DEP_1) | instid1(SALU_CYCLE_1)
	v_mad_u64_u32 v[0:1], null, s15, s4, v[2:3]
	s_delay_alu instid0(VALU_DEP_1)
	v_cmp_gt_i32_e32 vcc_lo, s2, v0
	s_and_saveexec_b32 s2, vcc_lo
	s_cbranch_execz .LBB43_5
; %bb.1:
	s_clause 0x3
	s_load_b32 s2, s[0:1], 0x28
	s_load_b64 s[12:13], s[0:1], 0x30
	s_load_b256 s[4:11], s[0:1], 0x0
	s_load_b64 s[0:1], s[0:1], 0x20
	s_bitcmp1_b32 s3, 0
	s_cselect_b32 s15, -1, 0
	s_ashr_i32 s16, s14, 31
	s_waitcnt lgkmcnt(0)
	v_mad_u64_u32 v[1:2], null, v0, s2, v[0:1]
	s_mul_i32 s2, s14, s13
	s_mul_hi_u32 s3, s14, s12
	s_mul_i32 s13, s16, s12
	s_add_i32 s3, s3, s2
	s_mul_i32 s2, s14, s12
	s_add_i32 s3, s3, s13
	s_delay_alu instid0(VALU_DEP_1)
	v_ashrrev_i32_e32 v2, 31, v1
	s_lshl_b64 s[2:3], s[2:3], 3
	s_mul_i32 s16, s16, s8
	s_add_u32 s2, s10, s2
	s_addc_u32 s3, s11, s3
	v_lshlrev_b64 v[2:3], 3, v[1:2]
	s_lshl_b64 s[0:1], s[0:1], 3
	v_ashrrev_i32_e32 v1, 31, v0
	s_add_u32 s0, s2, s0
	s_addc_u32 s1, s3, s1
	s_delay_alu instid0(VALU_DEP_2)
	v_add_co_u32 v2, vcc_lo, s0, v2
	v_add_co_ci_u32_e32 v3, vcc_lo, s1, v3, vcc_lo
	s_mul_i32 s0, s14, s9
	s_mul_hi_u32 s1, s14, s8
	v_lshlrev_b64 v[0:1], 2, v[0:1]
	global_load_b32 v4, v[2:3], off
	s_add_i32 s1, s1, s0
	s_mul_i32 s0, s14, s8
	s_add_i32 s1, s1, s16
	s_delay_alu instid0(SALU_CYCLE_1) | instskip(NEXT) | instid1(SALU_CYCLE_1)
	s_lshl_b64 s[0:1], s[0:1], 2
	s_add_u32 s2, s4, s0
	s_addc_u32 s3, s5, s1
	s_lshl_b64 s[0:1], s[6:7], 2
	s_delay_alu instid0(SALU_CYCLE_1)
	s_add_u32 s0, s2, s0
	s_addc_u32 s1, s3, s1
	v_add_co_u32 v0, vcc_lo, s0, v0
	v_add_co_ci_u32_e32 v1, vcc_lo, s1, v1, vcc_lo
	s_and_b32 vcc_lo, exec_lo, s15
	s_waitcnt vmcnt(0)
	global_store_b32 v[0:1], v4, off
	s_cbranch_vccnz .LBB43_3
; %bb.2:
	global_load_b32 v5, v[2:3], off offset:4
	s_branch .LBB43_4
.LBB43_3:
	v_dual_mov_b32 v5, 0 :: v_dual_mov_b32 v4, 1.0
.LBB43_4:
	s_waitcnt vmcnt(0)
	global_store_b64 v[2:3], v[4:5], off
.LBB43_5:
	s_nop 0
	s_sendmsg sendmsg(MSG_DEALLOC_VGPRS)
	s_endpgm
	.section	.rodata,"a",@progbits
	.p2align	6, 0x0
	.amdhsa_kernel _ZN9rocsolver6v33100L8set_diagI19rocblas_complex_numIfEifPS3_TnNSt9enable_ifIXaa18rocblas_is_complexIT_Ent18rocblas_is_complexIT1_EEiE4typeELi0EEEvPS7_llT2_lT0_lSC_b
		.amdhsa_group_segment_fixed_size 0
		.amdhsa_private_segment_fixed_size 0
		.amdhsa_kernarg_size 320
		.amdhsa_user_sgpr_count 14
		.amdhsa_user_sgpr_dispatch_ptr 0
		.amdhsa_user_sgpr_queue_ptr 0
		.amdhsa_user_sgpr_kernarg_segment_ptr 1
		.amdhsa_user_sgpr_dispatch_id 0
		.amdhsa_user_sgpr_private_segment_size 0
		.amdhsa_wavefront_size32 1
		.amdhsa_uses_dynamic_stack 0
		.amdhsa_enable_private_segment 0
		.amdhsa_system_sgpr_workgroup_id_x 1
		.amdhsa_system_sgpr_workgroup_id_y 1
		.amdhsa_system_sgpr_workgroup_id_z 0
		.amdhsa_system_sgpr_workgroup_info 0
		.amdhsa_system_vgpr_workitem_id 1
		.amdhsa_next_free_vgpr 6
		.amdhsa_next_free_sgpr 17
		.amdhsa_reserve_vcc 1
		.amdhsa_float_round_mode_32 0
		.amdhsa_float_round_mode_16_64 0
		.amdhsa_float_denorm_mode_32 3
		.amdhsa_float_denorm_mode_16_64 3
		.amdhsa_dx10_clamp 1
		.amdhsa_ieee_mode 1
		.amdhsa_fp16_overflow 0
		.amdhsa_workgroup_processor_mode 1
		.amdhsa_memory_ordered 1
		.amdhsa_forward_progress 0
		.amdhsa_shared_vgpr_count 0
		.amdhsa_exception_fp_ieee_invalid_op 0
		.amdhsa_exception_fp_denorm_src 0
		.amdhsa_exception_fp_ieee_div_zero 0
		.amdhsa_exception_fp_ieee_overflow 0
		.amdhsa_exception_fp_ieee_underflow 0
		.amdhsa_exception_fp_ieee_inexact 0
		.amdhsa_exception_int_div_zero 0
	.end_amdhsa_kernel
	.section	.text._ZN9rocsolver6v33100L8set_diagI19rocblas_complex_numIfEifPS3_TnNSt9enable_ifIXaa18rocblas_is_complexIT_Ent18rocblas_is_complexIT1_EEiE4typeELi0EEEvPS7_llT2_lT0_lSC_b,"axG",@progbits,_ZN9rocsolver6v33100L8set_diagI19rocblas_complex_numIfEifPS3_TnNSt9enable_ifIXaa18rocblas_is_complexIT_Ent18rocblas_is_complexIT1_EEiE4typeELi0EEEvPS7_llT2_lT0_lSC_b,comdat
.Lfunc_end43:
	.size	_ZN9rocsolver6v33100L8set_diagI19rocblas_complex_numIfEifPS3_TnNSt9enable_ifIXaa18rocblas_is_complexIT_Ent18rocblas_is_complexIT1_EEiE4typeELi0EEEvPS7_llT2_lT0_lSC_b, .Lfunc_end43-_ZN9rocsolver6v33100L8set_diagI19rocblas_complex_numIfEifPS3_TnNSt9enable_ifIXaa18rocblas_is_complexIT_Ent18rocblas_is_complexIT1_EEiE4typeELi0EEEvPS7_llT2_lT0_lSC_b
                                        ; -- End function
	.section	.AMDGPU.csdata,"",@progbits
; Kernel info:
; codeLenInByte = 356
; NumSgprs: 19
; NumVgprs: 6
; ScratchSize: 0
; MemoryBound: 0
; FloatMode: 240
; IeeeMode: 1
; LDSByteSize: 0 bytes/workgroup (compile time only)
; SGPRBlocks: 2
; VGPRBlocks: 0
; NumSGPRsForWavesPerEU: 19
; NumVGPRsForWavesPerEU: 6
; Occupancy: 16
; WaveLimiterHint : 0
; COMPUTE_PGM_RSRC2:SCRATCH_EN: 0
; COMPUTE_PGM_RSRC2:USER_SGPR: 14
; COMPUTE_PGM_RSRC2:TRAP_HANDLER: 0
; COMPUTE_PGM_RSRC2:TGID_X_EN: 1
; COMPUTE_PGM_RSRC2:TGID_Y_EN: 1
; COMPUTE_PGM_RSRC2:TGID_Z_EN: 0
; COMPUTE_PGM_RSRC2:TIDIG_COMP_CNT: 1
	.section	.text._ZN9rocsolver6v33100L11set_taubetaI19rocblas_complex_numIfEifPS3_EEvPT_lS6_T2_llPT1_ll,"axG",@progbits,_ZN9rocsolver6v33100L11set_taubetaI19rocblas_complex_numIfEifPS3_EEvPT_lS6_T2_llPT1_ll,comdat
	.globl	_ZN9rocsolver6v33100L11set_taubetaI19rocblas_complex_numIfEifPS3_EEvPT_lS6_T2_llPT1_ll ; -- Begin function _ZN9rocsolver6v33100L11set_taubetaI19rocblas_complex_numIfEifPS3_EEvPT_lS6_T2_llPT1_ll
	.p2align	8
	.type	_ZN9rocsolver6v33100L11set_taubetaI19rocblas_complex_numIfEifPS3_EEvPT_lS6_T2_llPT1_ll,@function
_ZN9rocsolver6v33100L11set_taubetaI19rocblas_complex_numIfEifPS3_EEvPT_lS6_T2_llPT1_ll: ; @_ZN9rocsolver6v33100L11set_taubetaI19rocblas_complex_numIfEifPS3_EEvPT_lS6_T2_llPT1_ll
; %bb.0:
	s_mov_b32 s2, s15
	s_load_b512 s[4:19], s[0:1], 0x0
	s_ashr_i32 s3, s2, 31
	s_mov_b64 s[20:21], 0
	s_waitcnt lgkmcnt(0)
	s_cmp_eq_u64 s[16:17], 0
	s_cbranch_scc1 .LBB44_2
; %bb.1:
	s_load_b64 s[0:1], s[0:1], 0x40
	s_waitcnt lgkmcnt(0)
	s_mul_i32 s1, s2, s1
	s_mul_hi_u32 s20, s2, s0
	s_mul_i32 s21, s3, s0
	s_add_i32 s1, s20, s1
	s_mul_i32 s0, s2, s0
	s_add_i32 s1, s1, s21
	s_delay_alu instid0(SALU_CYCLE_1) | instskip(NEXT) | instid1(SALU_CYCLE_1)
	s_lshl_b64 s[0:1], s[0:1], 2
	s_add_u32 s16, s16, s0
	s_addc_u32 s17, s17, s1
	s_lshl_b64 s[0:1], s[18:19], 2
	s_delay_alu instid0(SALU_CYCLE_1)
	s_add_u32 s20, s16, s0
	s_addc_u32 s21, s17, s1
.LBB44_2:
	s_mul_i32 s0, s2, s15
	s_mul_hi_u32 s1, s2, s14
	s_mul_i32 s15, s3, s14
	s_add_i32 s1, s1, s0
	s_mul_i32 s0, s2, s14
	s_add_i32 s1, s1, s15
	s_mul_i32 s7, s2, s7
	s_lshl_b64 s[0:1], s[0:1], 3
	s_delay_alu instid0(SALU_CYCLE_1) | instskip(SKIP_2) | instid1(SALU_CYCLE_1)
	s_add_u32 s10, s10, s0
	s_addc_u32 s11, s11, s1
	s_lshl_b64 s[0:1], s[12:13], 3
	s_add_u32 s10, s10, s0
	s_mul_hi_u32 s0, s2, s6
	s_addc_u32 s11, s11, s1
	s_add_i32 s0, s0, s7
	s_mul_i32 s1, s3, s6
	s_delay_alu instid0(SALU_CYCLE_1) | instskip(SKIP_1) | instid1(SALU_CYCLE_1)
	s_add_i32 s1, s0, s1
	s_mul_i32 s0, s2, s6
	s_lshl_b64 s[0:1], s[0:1], 3
	s_delay_alu instid0(SALU_CYCLE_1)
	s_add_u32 s4, s4, s0
	s_addc_u32 s5, s5, s1
	s_lshl_b64 s[0:1], s[2:3], 3
	s_mov_b32 s2, -1
	s_add_u32 s6, s8, s0
	s_addc_u32 s7, s9, s1
	s_load_b32 s3, s[10:11], 0x4
	s_load_b32 s0, s[6:7], 0x0
	s_cmp_lg_u64 s[20:21], 0
	s_mov_b32 s1, 0
	s_cselect_b32 s8, -1, 0
	s_waitcnt lgkmcnt(0)
	v_mul_f32_e64 v2, s3, s3
	v_max_f32_e64 v0, s0, s0
	s_delay_alu instid0(VALU_DEP_1) | instskip(NEXT) | instid1(VALU_DEP_1)
	v_max_f32_e32 v0, v0, v2
	v_cmp_nlt_f32_e32 vcc_lo, 0, v0
	s_cbranch_vccz .LBB44_5
; %bb.3:
	v_dual_mov_b32 v1, 0 :: v_dual_mov_b32 v0, 1.0
	s_mov_b32 s2, 0
	s_and_b32 vcc_lo, exec_lo, s8
	s_delay_alu instid0(VALU_DEP_1)
	v_mov_b32_e32 v3, v1
	v_mov_b32_e32 v4, v1
	s_clause 0x1
	global_store_b64 v1, v[0:1], s[6:7]
	global_store_b64 v1, v[3:4], s[4:5]
	s_cbranch_vccz .LBB44_5
; %bb.4:
	global_load_b32 v5, v1, s[10:11]
	v_dual_mov_b32 v3, s20 :: v_dual_mov_b32 v4, s21
	s_mov_b32 s1, -1
	s_waitcnt vmcnt(0)
	flat_store_b32 v[3:4], v5
	global_store_b32 v1, v0, s[10:11]
.LBB44_5:
	s_and_b32 vcc_lo, exec_lo, s2
	s_cbranch_vccnz .LBB44_8
; %bb.6:
	s_and_not1_b32 vcc_lo, exec_lo, s1
	s_cbranch_vccz .LBB44_13
; %bb.7:
	s_endpgm
.LBB44_8:
	s_load_b32 s1, s[10:11], 0x0
	s_waitcnt lgkmcnt(0)
	v_fma_f32 v0, s1, s1, v2
	s_delay_alu instid0(VALU_DEP_1) | instskip(NEXT) | instid1(VALU_DEP_1)
	v_add_f32_e32 v0, s0, v0
	v_mul_f32_e32 v1, 0x4f800000, v0
	v_cmp_gt_f32_e32 vcc_lo, 0xf800000, v0
	s_delay_alu instid0(VALU_DEP_2) | instskip(NEXT) | instid1(VALU_DEP_1)
	v_cndmask_b32_e32 v0, v0, v1, vcc_lo
	v_sqrt_f32_e32 v1, v0
	s_waitcnt_depctr 0xfff
	v_add_nc_u32_e32 v3, -1, v1
	v_add_nc_u32_e32 v4, 1, v1
	s_delay_alu instid0(VALU_DEP_2) | instskip(NEXT) | instid1(VALU_DEP_2)
	v_fma_f32 v5, -v3, v1, v0
	v_fma_f32 v6, -v4, v1, v0
	s_delay_alu instid0(VALU_DEP_2) | instskip(NEXT) | instid1(VALU_DEP_1)
	v_cmp_ge_f32_e64 s0, 0, v5
	v_cndmask_b32_e64 v1, v1, v3, s0
	s_delay_alu instid0(VALU_DEP_3) | instskip(NEXT) | instid1(VALU_DEP_1)
	v_cmp_lt_f32_e64 s0, 0, v6
	v_cndmask_b32_e64 v1, v1, v4, s0
	v_cmp_ge_f32_e64 s0, s1, 0
	s_delay_alu instid0(VALU_DEP_2) | instskip(NEXT) | instid1(VALU_DEP_1)
	v_mul_f32_e32 v3, 0x37800000, v1
	v_cndmask_b32_e32 v1, v1, v3, vcc_lo
	v_cmp_class_f32_e64 vcc_lo, v0, 0x260
	s_delay_alu instid0(VALU_DEP_2) | instskip(NEXT) | instid1(VALU_DEP_1)
	v_cndmask_b32_e32 v0, v1, v0, vcc_lo
	v_cndmask_b32_e64 v0, v0, -v0, s0
	s_delay_alu instid0(VALU_DEP_1) | instskip(SKIP_2) | instid1(VALU_DEP_3)
	v_sub_f32_e32 v3, s1, v0
	v_div_scale_f32 v1, null, v0, v0, -s3
	v_div_scale_f32 v12, s0, -s3, v0, -s3
	v_fmac_f32_e32 v2, v3, v3
	s_delay_alu instid0(VALU_DEP_3) | instskip(NEXT) | instid1(VALU_DEP_1)
	v_rcp_f32_e32 v8, v1
	v_div_scale_f32 v6, null, v2, v2, v3
	v_div_scale_f32 v7, null, v2, v2, -s3
	v_div_scale_f32 v14, vcc_lo, v3, v2, v3
	s_delay_alu instid0(VALU_DEP_3) | instskip(NEXT) | instid1(VALU_DEP_2)
	v_rcp_f32_e32 v10, v6
	v_rcp_f32_e32 v11, v7
	s_delay_alu instid0(TRANS32_DEP_3)
	v_fma_f32 v15, -v1, v8, 1.0
	v_div_scale_f32 v19, s2, -s3, v2, -s3
	s_waitcnt_depctr 0xfff
	v_fma_f32 v17, -v6, v10, 1.0
	v_subrev_f32_e32 v5, s1, v0
	v_fma_f32 v18, -v7, v11, 1.0
	s_delay_alu instid0(VALU_DEP_3) | instskip(NEXT) | instid1(VALU_DEP_3)
	v_fmac_f32_e32 v10, v17, v10
	v_div_scale_f32 v4, null, v0, v0, v5
	v_div_scale_f32 v13, s1, v5, v0, v5
	s_delay_alu instid0(VALU_DEP_2) | instskip(SKIP_2) | instid1(VALU_DEP_1)
	v_rcp_f32_e32 v9, v4
	s_waitcnt_depctr 0xfff
	v_fma_f32 v16, -v4, v9, 1.0
	v_dual_fmac_f32 v8, v15, v8 :: v_dual_fmac_f32 v9, v16, v9
	s_delay_alu instid0(VALU_DEP_1) | instskip(NEXT) | instid1(VALU_DEP_1)
	v_dual_mul_f32 v15, v12, v8 :: v_dual_mul_f32 v16, v14, v10
	v_fma_f32 v20, -v1, v15, v12
	s_delay_alu instid0(VALU_DEP_2) | instskip(NEXT) | instid1(VALU_DEP_1)
	v_fma_f32 v21, -v6, v16, v14
	v_dual_fmac_f32 v11, v18, v11 :: v_dual_fmac_f32 v16, v21, v10
	s_delay_alu instid0(VALU_DEP_1) | instskip(NEXT) | instid1(VALU_DEP_2)
	v_dual_mul_f32 v17, v13, v9 :: v_dual_mul_f32 v18, v19, v11
	v_fma_f32 v6, -v6, v16, v14
	s_delay_alu instid0(VALU_DEP_2) | instskip(NEXT) | instid1(VALU_DEP_3)
	v_fma_f32 v22, -v4, v17, v13
	v_fma_f32 v23, -v7, v18, v19
	v_fmac_f32_e32 v15, v20, v8
	s_delay_alu instid0(VALU_DEP_4) | instskip(NEXT) | instid1(VALU_DEP_3)
	v_div_fmas_f32 v6, v6, v10, v16
	v_dual_fmac_f32 v17, v22, v9 :: v_dual_fmac_f32 v18, v23, v11
	s_mov_b32 vcc_lo, s2
	s_delay_alu instid0(VALU_DEP_3) | instskip(NEXT) | instid1(VALU_DEP_3)
	v_fma_f32 v1, -v1, v15, v12
	v_div_fixup_f32 v3, v6, v2, v3
	s_delay_alu instid0(VALU_DEP_3) | instskip(SKIP_1) | instid1(VALU_DEP_1)
	v_fma_f32 v4, -v4, v17, v13
	v_fma_f32 v7, -v7, v18, v19
	v_div_fmas_f32 v7, v7, v11, v18
	s_mov_b32 vcc_lo, s1
	s_delay_alu instid0(VALU_DEP_3) | instskip(SKIP_1) | instid1(VALU_DEP_2)
	v_div_fmas_f32 v9, v4, v9, v17
	s_mov_b32 vcc_lo, s0
	v_div_fixup_f32 v4, v7, v2, -s3
	v_div_fmas_f32 v8, v1, v8, v15
	v_mov_b32_e32 v1, 0
	v_div_fixup_f32 v5, v9, v0, v5
	s_mov_b32 s0, -1
	s_and_b32 vcc_lo, exec_lo, s8
	v_div_fixup_f32 v6, v8, v0, -s3
	s_clause 0x1
	global_store_b64 v1, v[3:4], s[6:7]
	global_store_b64 v1, v[5:6], s[4:5]
	s_cbranch_vccz .LBB44_10
; %bb.9:
	v_dual_mov_b32 v2, s20 :: v_dual_mov_b32 v3, s21
	v_mov_b32_e32 v4, 1.0
	s_mov_b32 s0, 0
	flat_store_b32 v[2:3], v0
	s_waitcnt lgkmcnt(0)
	global_store_b32 v1, v4, s[10:11]
.LBB44_10:
	s_and_not1_b32 vcc_lo, exec_lo, s0
	s_cbranch_vccnz .LBB44_12
; %bb.11:
	v_mov_b32_e32 v1, 0
	global_store_b32 v1, v0, s[10:11]
.LBB44_12:
.LBB44_13:
	v_mov_b32_e32 v0, 0
	global_store_b32 v0, v0, s[10:11] offset:4
	s_endpgm
	.section	.rodata,"a",@progbits
	.p2align	6, 0x0
	.amdhsa_kernel _ZN9rocsolver6v33100L11set_taubetaI19rocblas_complex_numIfEifPS3_EEvPT_lS6_T2_llPT1_ll
		.amdhsa_group_segment_fixed_size 0
		.amdhsa_private_segment_fixed_size 0
		.amdhsa_kernarg_size 72
		.amdhsa_user_sgpr_count 15
		.amdhsa_user_sgpr_dispatch_ptr 0
		.amdhsa_user_sgpr_queue_ptr 0
		.amdhsa_user_sgpr_kernarg_segment_ptr 1
		.amdhsa_user_sgpr_dispatch_id 0
		.amdhsa_user_sgpr_private_segment_size 0
		.amdhsa_wavefront_size32 1
		.amdhsa_uses_dynamic_stack 0
		.amdhsa_enable_private_segment 0
		.amdhsa_system_sgpr_workgroup_id_x 1
		.amdhsa_system_sgpr_workgroup_id_y 0
		.amdhsa_system_sgpr_workgroup_id_z 0
		.amdhsa_system_sgpr_workgroup_info 0
		.amdhsa_system_vgpr_workitem_id 0
		.amdhsa_next_free_vgpr 24
		.amdhsa_next_free_sgpr 22
		.amdhsa_reserve_vcc 1
		.amdhsa_float_round_mode_32 0
		.amdhsa_float_round_mode_16_64 0
		.amdhsa_float_denorm_mode_32 3
		.amdhsa_float_denorm_mode_16_64 3
		.amdhsa_dx10_clamp 1
		.amdhsa_ieee_mode 1
		.amdhsa_fp16_overflow 0
		.amdhsa_workgroup_processor_mode 1
		.amdhsa_memory_ordered 1
		.amdhsa_forward_progress 0
		.amdhsa_shared_vgpr_count 0
		.amdhsa_exception_fp_ieee_invalid_op 0
		.amdhsa_exception_fp_denorm_src 0
		.amdhsa_exception_fp_ieee_div_zero 0
		.amdhsa_exception_fp_ieee_overflow 0
		.amdhsa_exception_fp_ieee_underflow 0
		.amdhsa_exception_fp_ieee_inexact 0
		.amdhsa_exception_int_div_zero 0
	.end_amdhsa_kernel
	.section	.text._ZN9rocsolver6v33100L11set_taubetaI19rocblas_complex_numIfEifPS3_EEvPT_lS6_T2_llPT1_ll,"axG",@progbits,_ZN9rocsolver6v33100L11set_taubetaI19rocblas_complex_numIfEifPS3_EEvPT_lS6_T2_llPT1_ll,comdat
.Lfunc_end44:
	.size	_ZN9rocsolver6v33100L11set_taubetaI19rocblas_complex_numIfEifPS3_EEvPT_lS6_T2_llPT1_ll, .Lfunc_end44-_ZN9rocsolver6v33100L11set_taubetaI19rocblas_complex_numIfEifPS3_EEvPT_lS6_T2_llPT1_ll
                                        ; -- End function
	.section	.AMDGPU.csdata,"",@progbits
; Kernel info:
; codeLenInByte = 1052
; NumSgprs: 24
; NumVgprs: 24
; ScratchSize: 0
; MemoryBound: 0
; FloatMode: 240
; IeeeMode: 1
; LDSByteSize: 0 bytes/workgroup (compile time only)
; SGPRBlocks: 2
; VGPRBlocks: 2
; NumSGPRsForWavesPerEU: 24
; NumVGPRsForWavesPerEU: 24
; Occupancy: 16
; WaveLimiterHint : 0
; COMPUTE_PGM_RSRC2:SCRATCH_EN: 0
; COMPUTE_PGM_RSRC2:USER_SGPR: 15
; COMPUTE_PGM_RSRC2:TRAP_HANDLER: 0
; COMPUTE_PGM_RSRC2:TGID_X_EN: 1
; COMPUTE_PGM_RSRC2:TGID_Y_EN: 0
; COMPUTE_PGM_RSRC2:TGID_Z_EN: 0
; COMPUTE_PGM_RSRC2:TIDIG_COMP_CNT: 0
	.section	.text._ZN9rocsolver6v33100L13conj_in_placeI19rocblas_complex_numIfEiPS3_TnNSt9enable_ifIX18rocblas_is_complexIT_EEiE4typeELi0EEEvT0_S9_T1_lS9_l,"axG",@progbits,_ZN9rocsolver6v33100L13conj_in_placeI19rocblas_complex_numIfEiPS3_TnNSt9enable_ifIX18rocblas_is_complexIT_EEiE4typeELi0EEEvT0_S9_T1_lS9_l,comdat
	.globl	_ZN9rocsolver6v33100L13conj_in_placeI19rocblas_complex_numIfEiPS3_TnNSt9enable_ifIX18rocblas_is_complexIT_EEiE4typeELi0EEEvT0_S9_T1_lS9_l ; -- Begin function _ZN9rocsolver6v33100L13conj_in_placeI19rocblas_complex_numIfEiPS3_TnNSt9enable_ifIX18rocblas_is_complexIT_EEiE4typeELi0EEEvT0_S9_T1_lS9_l
	.p2align	8
	.type	_ZN9rocsolver6v33100L13conj_in_placeI19rocblas_complex_numIfEiPS3_TnNSt9enable_ifIX18rocblas_is_complexIT_EEiE4typeELi0EEEvT0_S9_T1_lS9_l,@function
_ZN9rocsolver6v33100L13conj_in_placeI19rocblas_complex_numIfEiPS3_TnNSt9enable_ifIX18rocblas_is_complexIT_EEiE4typeELi0EEEvT0_S9_T1_lS9_l: ; @_ZN9rocsolver6v33100L13conj_in_placeI19rocblas_complex_numIfEiPS3_TnNSt9enable_ifIX18rocblas_is_complexIT_EEiE4typeELi0EEEvT0_S9_T1_lS9_l
; %bb.0:
	s_clause 0x1
	s_load_b32 s4, s[0:1], 0x34
	s_load_b64 s[2:3], s[0:1], 0x0
	v_and_b32_e32 v2, 0x3ff, v0
	v_bfe_u32 v3, v0, 10, 10
	s_waitcnt lgkmcnt(0)
	s_lshr_b32 s5, s4, 16
	s_and_b32 s4, s4, 0xffff
	s_delay_alu instid0(VALU_DEP_1) | instid1(SALU_CYCLE_1)
	v_mad_u64_u32 v[0:1], null, s13, s4, v[2:3]
	v_mad_u64_u32 v[1:2], null, s14, s5, v[3:4]
	s_delay_alu instid0(VALU_DEP_2) | instskip(NEXT) | instid1(VALU_DEP_2)
	v_cmp_gt_i32_e32 vcc_lo, s2, v0
	v_cmp_gt_i32_e64 s2, s3, v1
	s_delay_alu instid0(VALU_DEP_1) | instskip(NEXT) | instid1(SALU_CYCLE_1)
	s_and_b32 s2, vcc_lo, s2
	s_and_saveexec_b32 s3, s2
	s_cbranch_execz .LBB45_2
; %bb.1:
	s_clause 0x2
	s_load_b64 s[4:5], s[0:1], 0x20
	s_load_b32 s6, s[0:1], 0x18
	s_load_b128 s[0:3], s[0:1], 0x8
	s_ashr_i32 s7, s15, 31
	s_waitcnt lgkmcnt(0)
	s_mul_i32 s5, s15, s5
	v_mad_i64_i32 v[2:3], null, v1, s6, 0
	s_mul_hi_u32 s8, s15, s4
	s_mul_i32 s7, s7, s4
	s_add_i32 s5, s8, s5
	s_mul_i32 s4, s15, s4
	s_add_i32 s5, s5, s7
	v_ashrrev_i32_e32 v1, 31, v0
	s_lshl_b64 s[4:5], s[4:5], 3
	v_lshlrev_b64 v[3:4], 3, v[2:3]
	s_add_u32 s4, s0, s4
	s_addc_u32 s5, s1, s5
	s_lshl_b64 s[0:1], s[2:3], 3
	v_lshlrev_b64 v[5:6], 3, v[0:1]
	s_add_u32 s0, s4, s0
	s_addc_u32 s1, s5, s1
	v_add_co_u32 v1, vcc_lo, s0, v3
	v_add_co_ci_u32_e32 v4, vcc_lo, s1, v4, vcc_lo
	v_add_nc_u32_e32 v0, v2, v0
	s_delay_alu instid0(VALU_DEP_3) | instskip(NEXT) | instid1(VALU_DEP_3)
	v_add_co_u32 v3, vcc_lo, v1, v5
	v_add_co_ci_u32_e32 v4, vcc_lo, v4, v6, vcc_lo
	s_delay_alu instid0(VALU_DEP_3) | instskip(SKIP_2) | instid1(VALU_DEP_1)
	v_ashrrev_i32_e32 v1, 31, v0
	global_load_b64 v[3:4], v[3:4], off
	v_lshlrev_b64 v[0:1], 3, v[0:1]
	v_add_co_u32 v0, vcc_lo, s0, v0
	s_delay_alu instid0(VALU_DEP_2)
	v_add_co_ci_u32_e32 v1, vcc_lo, s1, v1, vcc_lo
	s_waitcnt vmcnt(0)
	v_xor_b32_e32 v4, 0x80000000, v4
	global_store_b64 v[0:1], v[3:4], off
.LBB45_2:
	s_nop 0
	s_sendmsg sendmsg(MSG_DEALLOC_VGPRS)
	s_endpgm
	.section	.rodata,"a",@progbits
	.p2align	6, 0x0
	.amdhsa_kernel _ZN9rocsolver6v33100L13conj_in_placeI19rocblas_complex_numIfEiPS3_TnNSt9enable_ifIX18rocblas_is_complexIT_EEiE4typeELi0EEEvT0_S9_T1_lS9_l
		.amdhsa_group_segment_fixed_size 0
		.amdhsa_private_segment_fixed_size 0
		.amdhsa_kernarg_size 296
		.amdhsa_user_sgpr_count 13
		.amdhsa_user_sgpr_dispatch_ptr 0
		.amdhsa_user_sgpr_queue_ptr 0
		.amdhsa_user_sgpr_kernarg_segment_ptr 1
		.amdhsa_user_sgpr_dispatch_id 0
		.amdhsa_user_sgpr_private_segment_size 0
		.amdhsa_wavefront_size32 1
		.amdhsa_uses_dynamic_stack 0
		.amdhsa_enable_private_segment 0
		.amdhsa_system_sgpr_workgroup_id_x 1
		.amdhsa_system_sgpr_workgroup_id_y 1
		.amdhsa_system_sgpr_workgroup_id_z 1
		.amdhsa_system_sgpr_workgroup_info 0
		.amdhsa_system_vgpr_workitem_id 1
		.amdhsa_next_free_vgpr 7
		.amdhsa_next_free_sgpr 16
		.amdhsa_reserve_vcc 1
		.amdhsa_float_round_mode_32 0
		.amdhsa_float_round_mode_16_64 0
		.amdhsa_float_denorm_mode_32 3
		.amdhsa_float_denorm_mode_16_64 3
		.amdhsa_dx10_clamp 1
		.amdhsa_ieee_mode 1
		.amdhsa_fp16_overflow 0
		.amdhsa_workgroup_processor_mode 1
		.amdhsa_memory_ordered 1
		.amdhsa_forward_progress 0
		.amdhsa_shared_vgpr_count 0
		.amdhsa_exception_fp_ieee_invalid_op 0
		.amdhsa_exception_fp_denorm_src 0
		.amdhsa_exception_fp_ieee_div_zero 0
		.amdhsa_exception_fp_ieee_overflow 0
		.amdhsa_exception_fp_ieee_underflow 0
		.amdhsa_exception_fp_ieee_inexact 0
		.amdhsa_exception_int_div_zero 0
	.end_amdhsa_kernel
	.section	.text._ZN9rocsolver6v33100L13conj_in_placeI19rocblas_complex_numIfEiPS3_TnNSt9enable_ifIX18rocblas_is_complexIT_EEiE4typeELi0EEEvT0_S9_T1_lS9_l,"axG",@progbits,_ZN9rocsolver6v33100L13conj_in_placeI19rocblas_complex_numIfEiPS3_TnNSt9enable_ifIX18rocblas_is_complexIT_EEiE4typeELi0EEEvT0_S9_T1_lS9_l,comdat
.Lfunc_end45:
	.size	_ZN9rocsolver6v33100L13conj_in_placeI19rocblas_complex_numIfEiPS3_TnNSt9enable_ifIX18rocblas_is_complexIT_EEiE4typeELi0EEEvT0_S9_T1_lS9_l, .Lfunc_end45-_ZN9rocsolver6v33100L13conj_in_placeI19rocblas_complex_numIfEiPS3_TnNSt9enable_ifIX18rocblas_is_complexIT_EEiE4typeELi0EEEvT0_S9_T1_lS9_l
                                        ; -- End function
	.section	.AMDGPU.csdata,"",@progbits
; Kernel info:
; codeLenInByte = 320
; NumSgprs: 18
; NumVgprs: 7
; ScratchSize: 0
; MemoryBound: 0
; FloatMode: 240
; IeeeMode: 1
; LDSByteSize: 0 bytes/workgroup (compile time only)
; SGPRBlocks: 2
; VGPRBlocks: 0
; NumSGPRsForWavesPerEU: 18
; NumVGPRsForWavesPerEU: 7
; Occupancy: 16
; WaveLimiterHint : 0
; COMPUTE_PGM_RSRC2:SCRATCH_EN: 0
; COMPUTE_PGM_RSRC2:USER_SGPR: 13
; COMPUTE_PGM_RSRC2:TRAP_HANDLER: 0
; COMPUTE_PGM_RSRC2:TGID_X_EN: 1
; COMPUTE_PGM_RSRC2:TGID_Y_EN: 1
; COMPUTE_PGM_RSRC2:TGID_Z_EN: 1
; COMPUTE_PGM_RSRC2:TIDIG_COMP_CNT: 1
	.section	.text._ZN9rocsolver6v33100L16larf_left_kernelILi1024E19rocblas_complex_numIfEiPS3_EEvT1_S5_T2_lS5_lPKT0_lS6_lS5_l,"axG",@progbits,_ZN9rocsolver6v33100L16larf_left_kernelILi1024E19rocblas_complex_numIfEiPS3_EEvT1_S5_T2_lS5_lPKT0_lS6_lS5_l,comdat
	.globl	_ZN9rocsolver6v33100L16larf_left_kernelILi1024E19rocblas_complex_numIfEiPS3_EEvT1_S5_T2_lS5_lPKT0_lS6_lS5_l ; -- Begin function _ZN9rocsolver6v33100L16larf_left_kernelILi1024E19rocblas_complex_numIfEiPS3_EEvT1_S5_T2_lS5_lPKT0_lS6_lS5_l
	.p2align	8
	.type	_ZN9rocsolver6v33100L16larf_left_kernelILi1024E19rocblas_complex_numIfEiPS3_EEvT1_S5_T2_lS5_lPKT0_lS6_lS5_l,@function
_ZN9rocsolver6v33100L16larf_left_kernelILi1024E19rocblas_complex_numIfEiPS3_EEvT1_S5_T2_lS5_lPKT0_lS6_lS5_l: ; @_ZN9rocsolver6v33100L16larf_left_kernelILi1024E19rocblas_complex_numIfEiPS3_EEvT1_S5_T2_lS5_lPKT0_lS6_lS5_l
; %bb.0:
	s_clause 0x4
	s_load_b32 s20, s[0:1], 0x0
	s_load_b64 s[2:3], s[0:1], 0x50
	s_load_b32 s18, s[0:1], 0x48
	s_load_b64 s[12:13], s[0:1], 0x40
	s_load_b256 s[4:11], s[0:1], 0x20
	v_dual_mov_b32 v5, 0 :: v_dual_mov_b32 v6, 0
	v_lshlrev_b32_e32 v3, 3, v0
	s_ashr_i32 s24, s15, 31
	s_mov_b32 s17, 0
	s_waitcnt lgkmcnt(0)
	v_cmp_gt_i32_e32 vcc_lo, s20, v0
	s_mul_i32 s21, s2, s24
	s_mul_hi_u32 s22, s2, s15
	s_mul_i32 s23, s3, s15
	s_mul_i32 s16, s2, s15
	s_mul_hi_i32 s19, s14, s18
	s_mul_i32 s18, s14, s18
	s_and_saveexec_b32 s14, vcc_lo
	s_cbranch_execz .LBB46_6
; %bb.1:
	s_clause 0x1
	s_load_b32 s26, s[0:1], 0x18
	s_load_b128 s[0:3], s[0:1], 0x8
	s_sub_i32 s25, 1, s20
	s_mul_i32 s29, s4, s24
	s_mul_hi_u32 s30, s4, s15
	s_mul_i32 s5, s5, s15
	s_mul_i32 s4, s4, s15
	v_add3_u32 v4, v3, 0, 0x100
	v_mov_b32_e32 v6, v0
	s_delay_alu instid0(VALU_DEP_2)
	v_mov_b32_e32 v5, v4
	s_waitcnt lgkmcnt(0)
	s_ashr_i32 s27, s26, 31
	v_mad_i64_i32 v[1:2], null, s26, v0, 0
	v_cmp_lt_i64_e64 s28, s[26:27], 1
	s_mul_i32 s25, s25, s26
	s_delay_alu instid0(VALU_DEP_1)
	s_and_b32 s28, s28, exec_lo
	s_cselect_b32 s28, s25, 0
	s_add_i32 s25, s30, s29
	s_ashr_i32 s29, s28, 31
	s_add_i32 s5, s25, s5
	s_lshl_b64 s[28:29], s[28:29], 3
	s_lshl_b64 s[2:3], s[2:3], 3
	;; [unrolled: 1-line block ×3, first 2 shown]
	v_lshlrev_b64 v[1:2], 3, v[1:2]
	s_add_u32 s0, s0, s28
	s_addc_u32 s1, s1, s29
	s_add_u32 s0, s0, s2
	s_addc_u32 s1, s1, s3
	;; [unrolled: 2-line block ×3, first 2 shown]
	v_add_co_u32 v1, s0, s0, v1
	s_delay_alu instid0(VALU_DEP_1)
	v_add_co_ci_u32_e64 v2, s0, s1, v2, s0
	s_lshl_b64 s[2:3], s[26:27], 13
	.p2align	6
.LBB46_2:                               ; =>This Inner Loop Header: Depth=1
	global_load_b64 v[7:8], v[1:2], off
	v_add_nc_u32_e32 v6, 0x400, v6
	v_add_co_u32 v1, s0, v1, s2
	s_delay_alu instid0(VALU_DEP_1) | instskip(NEXT) | instid1(VALU_DEP_3)
	v_add_co_ci_u32_e64 v2, s0, s3, v2, s0
	v_cmp_le_i32_e64 s1, s20, v6
	s_delay_alu instid0(VALU_DEP_1)
	s_or_b32 s17, s1, s17
	s_waitcnt vmcnt(0)
	ds_store_b64 v5, v[7:8]
	v_add_nc_u32_e32 v5, 0x2000, v5
	s_and_not1_b32 exec_lo, exec_lo, s17
	s_cbranch_execnz .LBB46_2
; %bb.3:
	s_or_b32 exec_lo, exec_lo, s17
	s_add_i32 s0, s22, s21
	v_dual_mov_b32 v6, 0 :: v_dual_lshlrev_b32 v1, 3, v0
	s_add_i32 s17, s0, s23
	s_lshl_b64 s[0:1], s[18:19], 3
	s_lshl_b64 s[2:3], s[16:17], 3
	v_mov_b32_e32 v5, 0
	s_add_u32 s2, s2, s0
	s_addc_u32 s3, s3, s1
	s_lshl_b64 s[0:1], s[12:13], 3
	v_mov_b32_e32 v7, v0
	s_add_u32 s0, s2, s0
	s_addc_u32 s1, s3, s1
	s_add_u32 s0, s10, s0
	s_addc_u32 s1, s11, s1
	v_add_co_u32 v1, s0, s0, v1
	s_delay_alu instid0(VALU_DEP_1) | instskip(SKIP_1) | instid1(VALU_DEP_2)
	v_add_co_ci_u32_e64 v2, null, s1, 0, s0
	s_mov_b32 s2, 0
	v_add_co_u32 v1, s0, v1, 4
	s_delay_alu instid0(VALU_DEP_1)
	v_add_co_ci_u32_e64 v2, s0, 0, v2, s0
	.p2align	6
.LBB46_4:                               ; =>This Inner Loop Header: Depth=1
	global_load_b64 v[8:9], v[1:2], off offset:-4
	ds_load_b64 v[10:11], v4
	v_add_co_u32 v1, s0, 0x2000, v1
	s_delay_alu instid0(VALU_DEP_1) | instskip(SKIP_4) | instid1(VALU_DEP_2)
	v_add_co_ci_u32_e64 v2, s0, 0, v2, s0
	v_add_nc_u32_e32 v4, 0x2000, v4
	s_waitcnt vmcnt(0) lgkmcnt(0)
	v_mul_f32_e32 v12, v9, v11
	v_mul_f32_e32 v9, v9, v10
	v_dual_fmac_f32 v12, v8, v10 :: v_dual_add_nc_u32 v7, 0x400, v7
	s_delay_alu instid0(VALU_DEP_2) | instskip(NEXT) | instid1(VALU_DEP_2)
	v_fma_f32 v8, v8, v11, -v9
	v_cmp_le_i32_e64 s1, s20, v7
	s_delay_alu instid0(VALU_DEP_3) | instskip(NEXT) | instid1(VALU_DEP_3)
	v_add_f32_e32 v6, v6, v12
	v_add_f32_e32 v5, v5, v8
	s_delay_alu instid0(VALU_DEP_3) | instskip(NEXT) | instid1(SALU_CYCLE_1)
	s_or_b32 s2, s1, s2
	s_and_not1_b32 exec_lo, exec_lo, s2
	s_cbranch_execnz .LBB46_4
; %bb.5:
	s_or_b32 exec_lo, exec_lo, s2
.LBB46_6:
	s_delay_alu instid0(SALU_CYCLE_1) | instskip(SKIP_2) | instid1(VALU_DEP_1)
	s_or_b32 exec_lo, exec_lo, s14
	v_mbcnt_lo_u32_b32 v1, -1, 0
	s_mov_b32 s1, exec_lo
	v_cmp_ne_u32_e64 s0, 31, v1
	s_delay_alu instid0(VALU_DEP_1) | instskip(SKIP_1) | instid1(VALU_DEP_2)
	v_add_co_ci_u32_e64 v2, s0, 0, v1, s0
	v_cmp_gt_u32_e64 s0, 30, v1
	v_lshlrev_b32_e32 v2, 2, v2
	s_delay_alu instid0(VALU_DEP_2)
	v_cndmask_b32_e64 v7, 0, 1, s0
	v_cmp_gt_u32_e64 s0, 28, v1
	ds_bpermute_b32 v4, v2, v6
	ds_bpermute_b32 v2, v2, v5
	s_waitcnt lgkmcnt(1)
	v_dual_add_f32 v4, v6, v4 :: v_dual_lshlrev_b32 v7, 1, v7
	s_delay_alu instid0(VALU_DEP_1)
	v_add_lshl_u32 v7, v7, v1, 2
	s_waitcnt lgkmcnt(0)
	v_add_f32_e32 v2, v5, v2
	ds_bpermute_b32 v5, v7, v4
	ds_bpermute_b32 v6, v7, v2
	v_cndmask_b32_e64 v7, 0, 1, s0
	v_cmp_gt_u32_e64 s0, 24, v1
	s_delay_alu instid0(VALU_DEP_2) | instskip(NEXT) | instid1(VALU_DEP_1)
	v_lshlrev_b32_e32 v7, 2, v7
	v_add_lshl_u32 v7, v7, v1, 2
	s_waitcnt lgkmcnt(1)
	v_add_f32_e32 v4, v4, v5
	s_waitcnt lgkmcnt(0)
	v_add_f32_e32 v2, v2, v6
	ds_bpermute_b32 v5, v7, v4
	ds_bpermute_b32 v6, v7, v2
	v_cndmask_b32_e64 v7, 0, 1, s0
	v_cmp_gt_u32_e64 s0, 16, v1
	s_delay_alu instid0(VALU_DEP_2) | instskip(NEXT) | instid1(VALU_DEP_1)
	v_lshlrev_b32_e32 v7, 3, v7
	v_add_lshl_u32 v7, v7, v1, 2
	s_waitcnt lgkmcnt(0)
	v_add_f32_e32 v2, v2, v6
	ds_bpermute_b32 v6, v7, v2
	v_add_f32_e32 v4, v4, v5
	ds_bpermute_b32 v5, v7, v4
	v_cndmask_b32_e64 v7, 0, 1, s0
	s_delay_alu instid0(VALU_DEP_1) | instskip(NEXT) | instid1(VALU_DEP_1)
	v_lshlrev_b32_e32 v7, 4, v7
	v_add_lshl_u32 v1, v7, v1, 2
	s_waitcnt lgkmcnt(0)
	v_dual_add_f32 v4, v4, v5 :: v_dual_add_f32 v5, v2, v6
	v_and_b32_e32 v6, 31, v0
	ds_bpermute_b32 v2, v1, v4
	ds_bpermute_b32 v1, v1, v5
	s_waitcnt lgkmcnt(0)
	v_dual_add_f32 v2, v4, v2 :: v_dual_add_f32 v1, v5, v1
	v_cmpx_eq_u32_e32 0, v6
	s_cbranch_execz .LBB46_8
; %bb.7:
	v_lshrrev_b32_e32 v4, 2, v0
	s_delay_alu instid0(VALU_DEP_1)
	v_add_nc_u32_e32 v4, 0, v4
	ds_store_2addr_b32 v4, v2, v1 offset1:1
.LBB46_8:
	s_or_b32 exec_lo, exec_lo, s1
	s_delay_alu instid0(SALU_CYCLE_1)
	s_mov_b32 s1, exec_lo
	s_waitcnt lgkmcnt(0)
	s_barrier
	buffer_gl0_inv
	v_cmpx_eq_u32_e32 0, v0
	s_cbranch_execz .LBB46_10
; %bb.9:
	v_mov_b32_e32 v16, 0
	ds_load_2addr_b64 v[4:7], v16 offset0:1 offset1:2
	ds_load_2addr_b64 v[8:11], v16 offset0:3 offset1:4
	s_waitcnt lgkmcnt(1)
	v_dual_add_f32 v1, v1, v5 :: v_dual_add_f32 v2, v2, v4
	ds_load_2addr_b64 v[12:15], v16 offset0:5 offset1:6
	v_dual_add_f32 v1, v1, v7 :: v_dual_add_f32 v2, v2, v6
	ds_load_2addr_b64 v[4:7], v16 offset0:7 offset1:8
	s_waitcnt lgkmcnt(2)
	v_dual_add_f32 v1, v1, v9 :: v_dual_add_f32 v2, v2, v8
	s_delay_alu instid0(VALU_DEP_1) | instskip(SKIP_3) | instid1(VALU_DEP_1)
	v_dual_add_f32 v1, v1, v11 :: v_dual_add_f32 v2, v2, v10
	ds_load_2addr_b64 v[8:11], v16 offset0:9 offset1:10
	s_waitcnt lgkmcnt(2)
	v_dual_add_f32 v1, v1, v13 :: v_dual_add_f32 v2, v2, v12
	v_dual_add_f32 v1, v1, v15 :: v_dual_add_f32 v2, v2, v14
	ds_load_2addr_b64 v[12:15], v16 offset0:11 offset1:12
	s_waitcnt lgkmcnt(2)
	v_dual_add_f32 v1, v1, v5 :: v_dual_add_f32 v2, v2, v4
	s_delay_alu instid0(VALU_DEP_1) | instskip(SKIP_3) | instid1(VALU_DEP_1)
	v_dual_add_f32 v1, v1, v7 :: v_dual_add_f32 v2, v2, v6
	ds_load_2addr_b64 v[4:7], v16 offset0:13 offset1:14
	s_waitcnt lgkmcnt(2)
	v_dual_add_f32 v1, v1, v9 :: v_dual_add_f32 v2, v2, v8
	;; [unrolled: 9-line block ×6, first 2 shown]
	v_dual_add_f32 v5, v1, v7 :: v_dual_add_f32 v4, v2, v6
	ds_load_b64 v[1:2], v16 offset:248
	s_waitcnt lgkmcnt(2)
	v_dual_add_f32 v5, v5, v9 :: v_dual_add_f32 v4, v4, v8
	s_delay_alu instid0(VALU_DEP_1) | instskip(SKIP_1) | instid1(VALU_DEP_1)
	v_dual_add_f32 v5, v5, v11 :: v_dual_add_f32 v4, v4, v10
	s_waitcnt lgkmcnt(1)
	v_dual_add_f32 v5, v5, v13 :: v_dual_add_f32 v4, v4, v12
	s_delay_alu instid0(VALU_DEP_1) | instskip(SKIP_1) | instid1(VALU_DEP_1)
	v_dual_add_f32 v5, v5, v15 :: v_dual_add_f32 v4, v4, v14
	s_waitcnt lgkmcnt(0)
	v_dual_add_f32 v2, v5, v2 :: v_dual_add_f32 v1, v4, v1
	ds_store_b64 v16, v[1:2]
.LBB46_10:
	s_or_b32 exec_lo, exec_lo, s1
	s_waitcnt lgkmcnt(0)
	s_barrier
	buffer_gl0_inv
	s_and_saveexec_b32 s0, vcc_lo
	s_cbranch_execz .LBB46_13
; %bb.11:
	s_mul_i32 s0, s15, s9
	s_mul_hi_u32 s1, s15, s8
	s_mul_i32 s2, s24, s8
	s_add_i32 s0, s1, s0
	v_mov_b32_e32 v1, 0
	s_add_i32 s1, s0, s2
	s_mul_i32 s0, s15, s8
	v_add3_u32 v4, v3, 0, 0x100
	s_lshl_b64 s[0:1], s[0:1], 3
	ds_load_b64 v[1:2], v1
	s_add_u32 s0, s6, s0
	s_addc_u32 s1, s7, s1
	s_add_i32 s2, s22, s21
	s_load_b64 s[0:1], s[0:1], 0x0
	s_add_i32 s17, s2, s23
	s_lshl_b64 s[2:3], s[18:19], 3
	s_lshl_b64 s[4:5], s[16:17], 3
	s_delay_alu instid0(SALU_CYCLE_1) | instskip(SKIP_2) | instid1(SALU_CYCLE_1)
	s_add_u32 s4, s4, s2
	s_addc_u32 s5, s5, s3
	s_lshl_b64 s[2:3], s[12:13], 3
	s_add_u32 s2, s4, s2
	s_addc_u32 s3, s5, s3
	s_add_u32 s2, s10, s2
	s_addc_u32 s3, s11, s3
	s_waitcnt lgkmcnt(0)
	v_dual_mul_f32 v5, s1, v2 :: v_dual_mul_f32 v6, s1, v1
	v_add_co_u32 v7, s1, s2, v3
	s_delay_alu instid0(VALU_DEP_1) | instskip(NEXT) | instid1(VALU_DEP_3)
	v_add_co_ci_u32_e64 v8, null, s3, 0, s1
	v_fma_f32 v3, v1, -s0, -v5
	s_delay_alu instid0(VALU_DEP_3) | instskip(SKIP_1) | instid1(VALU_DEP_4)
	v_add_co_u32 v1, vcc_lo, v7, 4
	v_fma_f32 v5, s0, v2, -v6
	v_add_co_ci_u32_e32 v2, vcc_lo, 0, v8, vcc_lo
	s_mov_b32 s1, 0
	.p2align	6
.LBB46_12:                              ; =>This Inner Loop Header: Depth=1
	global_load_b64 v[6:7], v[1:2], off offset:-4
	ds_load_b64 v[8:9], v4
	v_add_nc_u32_e32 v0, 0x400, v0
	v_add_nc_u32_e32 v4, 0x2000, v4
	s_delay_alu instid0(VALU_DEP_2) | instskip(SKIP_4) | instid1(VALU_DEP_2)
	v_cmp_le_i32_e32 vcc_lo, s20, v0
	s_or_b32 s1, vcc_lo, s1
	s_waitcnt lgkmcnt(0)
	v_mul_f32_e32 v10, v5, v9
	v_mul_f32_e32 v9, v3, v9
	v_fma_f32 v10, v3, v8, -v10
	s_waitcnt vmcnt(0)
	s_delay_alu instid0(VALU_DEP_1) | instskip(NEXT) | instid1(VALU_DEP_1)
	v_dual_fmac_f32 v9, v5, v8 :: v_dual_add_f32 v6, v6, v10
	v_add_f32_e32 v7, v7, v9
	global_store_b64 v[1:2], v[6:7], off offset:-4
	v_add_co_u32 v1, s0, 0x2000, v1
	s_delay_alu instid0(VALU_DEP_1)
	v_add_co_ci_u32_e64 v2, s0, 0, v2, s0
	s_and_not1_b32 exec_lo, exec_lo, s1
	s_cbranch_execnz .LBB46_12
.LBB46_13:
	s_nop 0
	s_sendmsg sendmsg(MSG_DEALLOC_VGPRS)
	s_endpgm
	.section	.rodata,"a",@progbits
	.p2align	6, 0x0
	.amdhsa_kernel _ZN9rocsolver6v33100L16larf_left_kernelILi1024E19rocblas_complex_numIfEiPS3_EEvT1_S5_T2_lS5_lPKT0_lS6_lS5_l
		.amdhsa_group_segment_fixed_size 0
		.amdhsa_private_segment_fixed_size 0
		.amdhsa_kernarg_size 88
		.amdhsa_user_sgpr_count 13
		.amdhsa_user_sgpr_dispatch_ptr 0
		.amdhsa_user_sgpr_queue_ptr 0
		.amdhsa_user_sgpr_kernarg_segment_ptr 1
		.amdhsa_user_sgpr_dispatch_id 0
		.amdhsa_user_sgpr_private_segment_size 0
		.amdhsa_wavefront_size32 1
		.amdhsa_uses_dynamic_stack 0
		.amdhsa_enable_private_segment 0
		.amdhsa_system_sgpr_workgroup_id_x 1
		.amdhsa_system_sgpr_workgroup_id_y 1
		.amdhsa_system_sgpr_workgroup_id_z 1
		.amdhsa_system_sgpr_workgroup_info 0
		.amdhsa_system_vgpr_workitem_id 0
		.amdhsa_next_free_vgpr 17
		.amdhsa_next_free_sgpr 31
		.amdhsa_reserve_vcc 1
		.amdhsa_float_round_mode_32 0
		.amdhsa_float_round_mode_16_64 0
		.amdhsa_float_denorm_mode_32 3
		.amdhsa_float_denorm_mode_16_64 3
		.amdhsa_dx10_clamp 1
		.amdhsa_ieee_mode 1
		.amdhsa_fp16_overflow 0
		.amdhsa_workgroup_processor_mode 1
		.amdhsa_memory_ordered 1
		.amdhsa_forward_progress 0
		.amdhsa_shared_vgpr_count 0
		.amdhsa_exception_fp_ieee_invalid_op 0
		.amdhsa_exception_fp_denorm_src 0
		.amdhsa_exception_fp_ieee_div_zero 0
		.amdhsa_exception_fp_ieee_overflow 0
		.amdhsa_exception_fp_ieee_underflow 0
		.amdhsa_exception_fp_ieee_inexact 0
		.amdhsa_exception_int_div_zero 0
	.end_amdhsa_kernel
	.section	.text._ZN9rocsolver6v33100L16larf_left_kernelILi1024E19rocblas_complex_numIfEiPS3_EEvT1_S5_T2_lS5_lPKT0_lS6_lS5_l,"axG",@progbits,_ZN9rocsolver6v33100L16larf_left_kernelILi1024E19rocblas_complex_numIfEiPS3_EEvT1_S5_T2_lS5_lPKT0_lS6_lS5_l,comdat
.Lfunc_end46:
	.size	_ZN9rocsolver6v33100L16larf_left_kernelILi1024E19rocblas_complex_numIfEiPS3_EEvT1_S5_T2_lS5_lPKT0_lS6_lS5_l, .Lfunc_end46-_ZN9rocsolver6v33100L16larf_left_kernelILi1024E19rocblas_complex_numIfEiPS3_EEvT1_S5_T2_lS5_lPKT0_lS6_lS5_l
                                        ; -- End function
	.section	.AMDGPU.csdata,"",@progbits
; Kernel info:
; codeLenInByte = 1824
; NumSgprs: 33
; NumVgprs: 17
; ScratchSize: 0
; MemoryBound: 0
; FloatMode: 240
; IeeeMode: 1
; LDSByteSize: 0 bytes/workgroup (compile time only)
; SGPRBlocks: 4
; VGPRBlocks: 2
; NumSGPRsForWavesPerEU: 33
; NumVGPRsForWavesPerEU: 17
; Occupancy: 16
; WaveLimiterHint : 0
; COMPUTE_PGM_RSRC2:SCRATCH_EN: 0
; COMPUTE_PGM_RSRC2:USER_SGPR: 13
; COMPUTE_PGM_RSRC2:TRAP_HANDLER: 0
; COMPUTE_PGM_RSRC2:TGID_X_EN: 1
; COMPUTE_PGM_RSRC2:TGID_Y_EN: 1
; COMPUTE_PGM_RSRC2:TGID_Z_EN: 1
; COMPUTE_PGM_RSRC2:TIDIG_COMP_CNT: 0
	.section	.text._ZN9rocsolver6v33100L17larf_right_kernelILi1024E19rocblas_complex_numIfEiPS3_EEvT1_S5_T2_lS5_lPKT0_lS6_lS5_l,"axG",@progbits,_ZN9rocsolver6v33100L17larf_right_kernelILi1024E19rocblas_complex_numIfEiPS3_EEvT1_S5_T2_lS5_lPKT0_lS6_lS5_l,comdat
	.globl	_ZN9rocsolver6v33100L17larf_right_kernelILi1024E19rocblas_complex_numIfEiPS3_EEvT1_S5_T2_lS5_lPKT0_lS6_lS5_l ; -- Begin function _ZN9rocsolver6v33100L17larf_right_kernelILi1024E19rocblas_complex_numIfEiPS3_EEvT1_S5_T2_lS5_lPKT0_lS6_lS5_l
	.p2align	8
	.type	_ZN9rocsolver6v33100L17larf_right_kernelILi1024E19rocblas_complex_numIfEiPS3_EEvT1_S5_T2_lS5_lPKT0_lS6_lS5_l,@function
_ZN9rocsolver6v33100L17larf_right_kernelILi1024E19rocblas_complex_numIfEiPS3_EEvT1_S5_T2_lS5_lPKT0_lS6_lS5_l: ; @_ZN9rocsolver6v33100L17larf_right_kernelILi1024E19rocblas_complex_numIfEiPS3_EEvT1_S5_T2_lS5_lPKT0_lS6_lS5_l
; %bb.0:
	s_clause 0x4
	s_load_b32 s24, s[0:1], 0x4
	s_load_b64 s[16:17], s[0:1], 0x50
	s_load_b64 s[20:21], s[0:1], 0x40
	s_load_b32 s12, s[0:1], 0x48
	s_load_b256 s[4:11], s[0:1], 0x20
	v_dual_mov_b32 v5, 0 :: v_dual_mov_b32 v6, 0
	v_lshlrev_b32_e32 v3, 3, v0
	s_mov_b32 s2, s15
	s_ashr_i32 s27, s15, 31
	s_mov_b32 s13, 0
	s_ashr_i32 s15, s14, 31
	s_waitcnt lgkmcnt(0)
	v_cmp_gt_i32_e32 vcc_lo, s24, v0
	s_mul_i32 s3, s16, s27
	s_mul_hi_u32 s26, s16, s2
	s_mul_i32 s25, s17, s2
	s_mul_i32 s22, s16, s2
	s_and_saveexec_b32 s28, vcc_lo
	s_cbranch_execz .LBB47_6
; %bb.1:
	s_clause 0x1
	s_load_b32 s30, s[0:1], 0x18
	s_load_b128 s[16:19], s[0:1], 0x8
	s_sub_i32 s1, 1, s24
	s_mul_i32 s23, s4, s27
	s_mul_hi_u32 s33, s4, s2
	s_mul_i32 s0, s4, s2
	s_mul_i32 s34, s5, s2
	v_add3_u32 v4, v3, 0, 0x100
	v_mov_b32_e32 v6, v0
	s_delay_alu instid0(VALU_DEP_2)
	v_mov_b32_e32 v5, v4
	s_waitcnt lgkmcnt(0)
	s_ashr_i32 s31, s30, 31
	v_mad_i64_i32 v[1:2], null, s30, v0, 0
	v_cmp_lt_i64_e64 s29, s[30:31], 1
	s_mul_i32 s1, s1, s30
	s_delay_alu instid0(VALU_DEP_1)
	s_and_b32 s4, s29, exec_lo
	s_cselect_b32 s4, s1, 0
	s_add_i32 s1, s33, s23
	s_ashr_i32 s5, s4, 31
	s_add_i32 s1, s1, s34
	s_lshl_b64 s[4:5], s[4:5], 3
	s_lshl_b64 s[18:19], s[18:19], 3
	;; [unrolled: 1-line block ×3, first 2 shown]
	v_lshlrev_b64 v[1:2], 3, v[1:2]
	s_add_u32 s4, s16, s4
	s_addc_u32 s5, s17, s5
	s_add_u32 s4, s4, s18
	s_addc_u32 s5, s5, s19
	;; [unrolled: 2-line block ×3, first 2 shown]
	v_add_co_u32 v1, s0, s0, v1
	s_delay_alu instid0(VALU_DEP_1)
	v_add_co_ci_u32_e64 v2, s0, s1, v2, s0
	s_lshl_b64 s[4:5], s[30:31], 13
	.p2align	6
.LBB47_2:                               ; =>This Inner Loop Header: Depth=1
	global_load_b64 v[7:8], v[1:2], off
	v_add_nc_u32_e32 v6, 0x400, v6
	v_add_co_u32 v1, s0, v1, s4
	s_delay_alu instid0(VALU_DEP_1) | instskip(NEXT) | instid1(VALU_DEP_3)
	v_add_co_ci_u32_e64 v2, s0, s5, v2, s0
	v_cmp_le_i32_e64 s1, s24, v6
	s_delay_alu instid0(VALU_DEP_1)
	s_or_b32 s13, s1, s13
	s_waitcnt vmcnt(0)
	ds_store_b64 v5, v[7:8]
	v_add_nc_u32_e32 v5, 0x2000, v5
	s_and_not1_b32 exec_lo, exec_lo, s13
	s_cbranch_execnz .LBB47_2
; %bb.3:
	s_or_b32 exec_lo, exec_lo, s13
	v_mad_i64_i32 v[1:2], null, s12, v0, 0
	s_add_i32 s4, s26, s3
	s_ashr_i32 s13, s12, 31
	s_add_i32 s23, s4, s25
	s_lshl_b64 s[4:5], s[14:15], 3
	s_lshl_b64 s[0:1], s[20:21], 3
	;; [unrolled: 1-line block ×3, first 2 shown]
	s_delay_alu instid0(VALU_DEP_1)
	v_lshlrev_b64 v[1:2], 3, v[1:2]
	s_add_u32 s4, s10, s4
	s_addc_u32 s5, s11, s5
	s_add_u32 s0, s4, s0
	s_addc_u32 s1, s5, s1
	;; [unrolled: 2-line block ×3, first 2 shown]
	v_add_co_u32 v1, s0, s0, v1
	s_delay_alu instid0(VALU_DEP_1)
	v_add_co_ci_u32_e64 v2, s0, s1, v2, s0
	v_dual_mov_b32 v5, 0 :: v_dual_mov_b32 v6, 0
	v_mov_b32_e32 v7, v0
	s_lshl_b64 s[4:5], s[12:13], 13
	s_mov_b32 s13, 0
	.p2align	6
.LBB47_4:                               ; =>This Inner Loop Header: Depth=1
	global_load_b64 v[8:9], v[1:2], off
	ds_load_b64 v[10:11], v4
	v_add_nc_u32_e32 v7, 0x400, v7
	v_add_co_u32 v1, s0, v1, s4
	s_delay_alu instid0(VALU_DEP_1)
	v_add_co_ci_u32_e64 v2, s0, s5, v2, s0
	v_add_nc_u32_e32 v4, 0x2000, v4
	s_waitcnt vmcnt(0) lgkmcnt(0)
	v_mul_f32_e32 v12, v11, v9
	v_mul_f32_e32 v9, v10, v9
	v_cmp_le_i32_e64 s1, s24, v7
	s_delay_alu instid0(VALU_DEP_3) | instskip(NEXT) | instid1(VALU_DEP_3)
	v_fma_f32 v10, v10, v8, -v12
	v_fmac_f32_e32 v9, v11, v8
	s_delay_alu instid0(VALU_DEP_3) | instskip(NEXT) | instid1(VALU_DEP_1)
	s_or_b32 s13, s1, s13
	v_dual_add_f32 v6, v6, v10 :: v_dual_add_f32 v5, v5, v9
	s_and_not1_b32 exec_lo, exec_lo, s13
	s_cbranch_execnz .LBB47_4
; %bb.5:
	s_or_b32 exec_lo, exec_lo, s13
.LBB47_6:
	s_delay_alu instid0(SALU_CYCLE_1) | instskip(SKIP_2) | instid1(VALU_DEP_1)
	s_or_b32 exec_lo, exec_lo, s28
	v_mbcnt_lo_u32_b32 v1, -1, 0
	s_mov_b32 s1, exec_lo
	v_cmp_ne_u32_e64 s0, 31, v1
	s_delay_alu instid0(VALU_DEP_1) | instskip(SKIP_1) | instid1(VALU_DEP_2)
	v_add_co_ci_u32_e64 v2, s0, 0, v1, s0
	v_cmp_gt_u32_e64 s0, 30, v1
	v_lshlrev_b32_e32 v2, 2, v2
	s_delay_alu instid0(VALU_DEP_2)
	v_cndmask_b32_e64 v7, 0, 1, s0
	v_cmp_gt_u32_e64 s0, 28, v1
	ds_bpermute_b32 v4, v2, v6
	ds_bpermute_b32 v2, v2, v5
	s_waitcnt lgkmcnt(1)
	v_dual_add_f32 v4, v6, v4 :: v_dual_lshlrev_b32 v7, 1, v7
	s_delay_alu instid0(VALU_DEP_1)
	v_add_lshl_u32 v7, v7, v1, 2
	s_waitcnt lgkmcnt(0)
	v_add_f32_e32 v2, v5, v2
	ds_bpermute_b32 v5, v7, v4
	ds_bpermute_b32 v6, v7, v2
	v_cndmask_b32_e64 v7, 0, 1, s0
	v_cmp_gt_u32_e64 s0, 24, v1
	s_delay_alu instid0(VALU_DEP_2) | instskip(NEXT) | instid1(VALU_DEP_1)
	v_lshlrev_b32_e32 v7, 2, v7
	v_add_lshl_u32 v7, v7, v1, 2
	s_waitcnt lgkmcnt(1)
	v_add_f32_e32 v4, v4, v5
	s_waitcnt lgkmcnt(0)
	v_add_f32_e32 v2, v2, v6
	ds_bpermute_b32 v5, v7, v4
	ds_bpermute_b32 v6, v7, v2
	v_cndmask_b32_e64 v7, 0, 1, s0
	v_cmp_gt_u32_e64 s0, 16, v1
	s_delay_alu instid0(VALU_DEP_2) | instskip(NEXT) | instid1(VALU_DEP_1)
	v_lshlrev_b32_e32 v7, 3, v7
	v_add_lshl_u32 v7, v7, v1, 2
	s_waitcnt lgkmcnt(0)
	v_add_f32_e32 v2, v2, v6
	ds_bpermute_b32 v6, v7, v2
	v_add_f32_e32 v4, v4, v5
	ds_bpermute_b32 v5, v7, v4
	v_cndmask_b32_e64 v7, 0, 1, s0
	s_delay_alu instid0(VALU_DEP_1) | instskip(NEXT) | instid1(VALU_DEP_1)
	v_lshlrev_b32_e32 v7, 4, v7
	v_add_lshl_u32 v1, v7, v1, 2
	s_waitcnt lgkmcnt(0)
	v_dual_add_f32 v4, v4, v5 :: v_dual_add_f32 v5, v2, v6
	v_and_b32_e32 v6, 31, v0
	ds_bpermute_b32 v2, v1, v4
	ds_bpermute_b32 v1, v1, v5
	s_waitcnt lgkmcnt(0)
	v_dual_add_f32 v2, v4, v2 :: v_dual_add_f32 v1, v5, v1
	v_cmpx_eq_u32_e32 0, v6
	s_cbranch_execz .LBB47_8
; %bb.7:
	v_lshrrev_b32_e32 v4, 2, v0
	s_delay_alu instid0(VALU_DEP_1)
	v_add_nc_u32_e32 v4, 0, v4
	ds_store_2addr_b32 v4, v2, v1 offset1:1
.LBB47_8:
	s_or_b32 exec_lo, exec_lo, s1
	s_delay_alu instid0(SALU_CYCLE_1)
	s_mov_b32 s1, exec_lo
	s_waitcnt lgkmcnt(0)
	s_barrier
	buffer_gl0_inv
	v_cmpx_eq_u32_e32 0, v0
	s_cbranch_execz .LBB47_10
; %bb.9:
	v_mov_b32_e32 v16, 0
	ds_load_2addr_b64 v[4:7], v16 offset0:1 offset1:2
	ds_load_2addr_b64 v[8:11], v16 offset0:3 offset1:4
	s_waitcnt lgkmcnt(1)
	v_dual_add_f32 v1, v1, v5 :: v_dual_add_f32 v2, v2, v4
	ds_load_2addr_b64 v[12:15], v16 offset0:5 offset1:6
	v_dual_add_f32 v1, v1, v7 :: v_dual_add_f32 v2, v2, v6
	ds_load_2addr_b64 v[4:7], v16 offset0:7 offset1:8
	s_waitcnt lgkmcnt(2)
	v_dual_add_f32 v1, v1, v9 :: v_dual_add_f32 v2, v2, v8
	s_delay_alu instid0(VALU_DEP_1) | instskip(SKIP_3) | instid1(VALU_DEP_1)
	v_dual_add_f32 v1, v1, v11 :: v_dual_add_f32 v2, v2, v10
	ds_load_2addr_b64 v[8:11], v16 offset0:9 offset1:10
	s_waitcnt lgkmcnt(2)
	v_dual_add_f32 v1, v1, v13 :: v_dual_add_f32 v2, v2, v12
	v_dual_add_f32 v1, v1, v15 :: v_dual_add_f32 v2, v2, v14
	ds_load_2addr_b64 v[12:15], v16 offset0:11 offset1:12
	s_waitcnt lgkmcnt(2)
	v_dual_add_f32 v1, v1, v5 :: v_dual_add_f32 v2, v2, v4
	s_delay_alu instid0(VALU_DEP_1) | instskip(SKIP_3) | instid1(VALU_DEP_1)
	v_dual_add_f32 v1, v1, v7 :: v_dual_add_f32 v2, v2, v6
	ds_load_2addr_b64 v[4:7], v16 offset0:13 offset1:14
	s_waitcnt lgkmcnt(2)
	v_dual_add_f32 v1, v1, v9 :: v_dual_add_f32 v2, v2, v8
	;; [unrolled: 9-line block ×6, first 2 shown]
	v_dual_add_f32 v5, v1, v7 :: v_dual_add_f32 v4, v2, v6
	ds_load_b64 v[1:2], v16 offset:248
	s_waitcnt lgkmcnt(2)
	v_dual_add_f32 v5, v5, v9 :: v_dual_add_f32 v4, v4, v8
	s_delay_alu instid0(VALU_DEP_1) | instskip(SKIP_1) | instid1(VALU_DEP_1)
	v_dual_add_f32 v5, v5, v11 :: v_dual_add_f32 v4, v4, v10
	s_waitcnt lgkmcnt(1)
	v_dual_add_f32 v5, v5, v13 :: v_dual_add_f32 v4, v4, v12
	s_delay_alu instid0(VALU_DEP_1) | instskip(SKIP_1) | instid1(VALU_DEP_1)
	v_dual_add_f32 v5, v5, v15 :: v_dual_add_f32 v4, v4, v14
	s_waitcnt lgkmcnt(0)
	v_dual_add_f32 v2, v5, v2 :: v_dual_add_f32 v1, v4, v1
	ds_store_b64 v16, v[1:2]
.LBB47_10:
	s_or_b32 exec_lo, exec_lo, s1
	s_waitcnt lgkmcnt(0)
	s_barrier
	buffer_gl0_inv
	s_and_saveexec_b32 s0, vcc_lo
	s_cbranch_execz .LBB47_13
; %bb.11:
	s_mul_i32 s0, s2, s9
	s_mul_hi_u32 s1, s2, s8
	s_mul_i32 s4, s27, s8
	s_add_i32 s0, s1, s0
	v_mov_b32_e32 v1, 0
	s_add_i32 s1, s0, s4
	s_mul_i32 s0, s2, s8
	v_mad_i64_i32 v[4:5], null, s12, v0, 0
	s_lshl_b64 s[0:1], s[0:1], 3
	ds_load_b64 v[1:2], v1
	s_add_u32 s0, s6, s0
	s_addc_u32 s1, s7, s1
	s_add_i32 s4, s26, s3
	s_load_b64 s[0:1], s[0:1], 0x0
	s_add_i32 s23, s4, s25
	s_lshl_b64 s[4:5], s[14:15], 3
	s_ashr_i32 s13, s12, 31
	s_lshl_b64 s[2:3], s[20:21], 3
	s_lshl_b64 s[6:7], s[22:23], 3
	v_lshlrev_b64 v[4:5], 3, v[4:5]
	s_add_u32 s4, s10, s4
	s_addc_u32 s5, s11, s5
	s_add_u32 s2, s4, s2
	s_addc_u32 s3, s5, s3
	;; [unrolled: 2-line block ×3, first 2 shown]
	v_add_co_u32 v8, vcc_lo, s2, v4
	v_add_co_ci_u32_e32 v9, vcc_lo, s3, v5, vcc_lo
	v_add3_u32 v3, v3, 0, 0x100
	s_lshl_b64 s[2:3], s[12:13], 13
	s_waitcnt lgkmcnt(0)
	v_dual_mul_f32 v6, s0, v1 :: v_dual_mul_f32 v7, s0, v2
	s_delay_alu instid0(VALU_DEP_1) | instskip(NEXT) | instid1(VALU_DEP_2)
	v_fma_f32 v4, s1, v2, -v6
	v_fma_f32 v5, v1, -s1, -v7
	v_add_co_u32 v1, vcc_lo, v8, 4
	v_add_co_ci_u32_e32 v2, vcc_lo, 0, v9, vcc_lo
	s_mov_b32 s1, 0
	.p2align	6
.LBB47_12:                              ; =>This Inner Loop Header: Depth=1
	global_load_b64 v[6:7], v[1:2], off offset:-4
	ds_load_b64 v[8:9], v3
	v_add_nc_u32_e32 v0, 0x400, v0
	v_add_nc_u32_e32 v3, 0x2000, v3
	s_delay_alu instid0(VALU_DEP_2) | instskip(SKIP_4) | instid1(VALU_DEP_2)
	v_cmp_le_i32_e32 vcc_lo, s24, v0
	s_or_b32 s1, vcc_lo, s1
	s_waitcnt lgkmcnt(0)
	v_mul_f32_e32 v10, v5, v9
	v_mul_f32_e32 v9, v4, v9
	v_fmac_f32_e32 v10, v4, v8
	s_delay_alu instid0(VALU_DEP_2) | instskip(SKIP_1) | instid1(VALU_DEP_1)
	v_fma_f32 v8, v5, v8, -v9
	s_waitcnt vmcnt(0)
	v_dual_add_f32 v6, v6, v10 :: v_dual_add_f32 v7, v7, v8
	global_store_b64 v[1:2], v[6:7], off offset:-4
	v_add_co_u32 v1, s0, v1, s2
	s_delay_alu instid0(VALU_DEP_1)
	v_add_co_ci_u32_e64 v2, s0, s3, v2, s0
	s_and_not1_b32 exec_lo, exec_lo, s1
	s_cbranch_execnz .LBB47_12
.LBB47_13:
	s_nop 0
	s_sendmsg sendmsg(MSG_DEALLOC_VGPRS)
	s_endpgm
	.section	.rodata,"a",@progbits
	.p2align	6, 0x0
	.amdhsa_kernel _ZN9rocsolver6v33100L17larf_right_kernelILi1024E19rocblas_complex_numIfEiPS3_EEvT1_S5_T2_lS5_lPKT0_lS6_lS5_l
		.amdhsa_group_segment_fixed_size 0
		.amdhsa_private_segment_fixed_size 0
		.amdhsa_kernarg_size 88
		.amdhsa_user_sgpr_count 13
		.amdhsa_user_sgpr_dispatch_ptr 0
		.amdhsa_user_sgpr_queue_ptr 0
		.amdhsa_user_sgpr_kernarg_segment_ptr 1
		.amdhsa_user_sgpr_dispatch_id 0
		.amdhsa_user_sgpr_private_segment_size 0
		.amdhsa_wavefront_size32 1
		.amdhsa_uses_dynamic_stack 0
		.amdhsa_enable_private_segment 0
		.amdhsa_system_sgpr_workgroup_id_x 1
		.amdhsa_system_sgpr_workgroup_id_y 1
		.amdhsa_system_sgpr_workgroup_id_z 1
		.amdhsa_system_sgpr_workgroup_info 0
		.amdhsa_system_vgpr_workitem_id 0
		.amdhsa_next_free_vgpr 17
		.amdhsa_next_free_sgpr 35
		.amdhsa_reserve_vcc 1
		.amdhsa_float_round_mode_32 0
		.amdhsa_float_round_mode_16_64 0
		.amdhsa_float_denorm_mode_32 3
		.amdhsa_float_denorm_mode_16_64 3
		.amdhsa_dx10_clamp 1
		.amdhsa_ieee_mode 1
		.amdhsa_fp16_overflow 0
		.amdhsa_workgroup_processor_mode 1
		.amdhsa_memory_ordered 1
		.amdhsa_forward_progress 0
		.amdhsa_shared_vgpr_count 0
		.amdhsa_exception_fp_ieee_invalid_op 0
		.amdhsa_exception_fp_denorm_src 0
		.amdhsa_exception_fp_ieee_div_zero 0
		.amdhsa_exception_fp_ieee_overflow 0
		.amdhsa_exception_fp_ieee_underflow 0
		.amdhsa_exception_fp_ieee_inexact 0
		.amdhsa_exception_int_div_zero 0
	.end_amdhsa_kernel
	.section	.text._ZN9rocsolver6v33100L17larf_right_kernelILi1024E19rocblas_complex_numIfEiPS3_EEvT1_S5_T2_lS5_lPKT0_lS6_lS5_l,"axG",@progbits,_ZN9rocsolver6v33100L17larf_right_kernelILi1024E19rocblas_complex_numIfEiPS3_EEvT1_S5_T2_lS5_lPKT0_lS6_lS5_l,comdat
.Lfunc_end47:
	.size	_ZN9rocsolver6v33100L17larf_right_kernelILi1024E19rocblas_complex_numIfEiPS3_EEvT1_S5_T2_lS5_lPKT0_lS6_lS5_l, .Lfunc_end47-_ZN9rocsolver6v33100L17larf_right_kernelILi1024E19rocblas_complex_numIfEiPS3_EEvT1_S5_T2_lS5_lPKT0_lS6_lS5_l
                                        ; -- End function
	.section	.AMDGPU.csdata,"",@progbits
; Kernel info:
; codeLenInByte = 1828
; NumSgprs: 37
; NumVgprs: 17
; ScratchSize: 0
; MemoryBound: 0
; FloatMode: 240
; IeeeMode: 1
; LDSByteSize: 0 bytes/workgroup (compile time only)
; SGPRBlocks: 4
; VGPRBlocks: 2
; NumSGPRsForWavesPerEU: 37
; NumVGPRsForWavesPerEU: 17
; Occupancy: 16
; WaveLimiterHint : 0
; COMPUTE_PGM_RSRC2:SCRATCH_EN: 0
; COMPUTE_PGM_RSRC2:USER_SGPR: 13
; COMPUTE_PGM_RSRC2:TRAP_HANDLER: 0
; COMPUTE_PGM_RSRC2:TGID_X_EN: 1
; COMPUTE_PGM_RSRC2:TGID_Y_EN: 1
; COMPUTE_PGM_RSRC2:TGID_Z_EN: 1
; COMPUTE_PGM_RSRC2:TIDIG_COMP_CNT: 0
	.section	.text._ZN9rocsolver6v33100L12restore_diagI19rocblas_complex_numIfEifPS3_EEvPT1_llT2_lT0_lS8_,"axG",@progbits,_ZN9rocsolver6v33100L12restore_diagI19rocblas_complex_numIfEifPS3_EEvPT1_llT2_lT0_lS8_,comdat
	.globl	_ZN9rocsolver6v33100L12restore_diagI19rocblas_complex_numIfEifPS3_EEvPT1_llT2_lT0_lS8_ ; -- Begin function _ZN9rocsolver6v33100L12restore_diagI19rocblas_complex_numIfEifPS3_EEvPT1_llT2_lT0_lS8_
	.p2align	8
	.type	_ZN9rocsolver6v33100L12restore_diagI19rocblas_complex_numIfEifPS3_EEvPT1_llT2_lT0_lS8_,@function
_ZN9rocsolver6v33100L12restore_diagI19rocblas_complex_numIfEifPS3_EEvPT1_llT2_lT0_lS8_: ; @_ZN9rocsolver6v33100L12restore_diagI19rocblas_complex_numIfEifPS3_EEvPT1_llT2_lT0_lS8_
; %bb.0:
	s_clause 0x1
	s_load_b32 s2, s[0:1], 0x4c
	s_load_b32 s3, s[0:1], 0x38
	v_bfe_u32 v2, v0, 10, 10
	s_waitcnt lgkmcnt(0)
	s_lshr_b32 s2, s2, 16
	s_delay_alu instid0(VALU_DEP_1) | instid1(SALU_CYCLE_1)
	v_mad_u64_u32 v[0:1], null, s15, s2, v[2:3]
	s_mov_b32 s2, exec_lo
	s_delay_alu instid0(VALU_DEP_1)
	v_cmpx_gt_i32_e64 s3, v0
	s_cbranch_execz .LBB48_2
; %bb.1:
	s_clause 0x3
	s_load_b64 s[2:3], s[0:1], 0x30
	s_load_b256 s[4:11], s[0:1], 0x0
	s_load_b32 s12, s[0:1], 0x28
	s_load_b64 s[0:1], s[0:1], 0x20
	s_ashr_i32 s13, s14, 31
	s_waitcnt lgkmcnt(0)
	s_mul_i32 s3, s14, s3
	s_mul_hi_u32 s15, s14, s2
	s_mul_i32 s16, s13, s2
	s_add_i32 s3, s15, s3
	s_mul_i32 s2, s14, s2
	s_add_i32 s3, s3, s16
	s_mul_i32 s9, s14, s9
	s_lshl_b64 s[2:3], s[2:3], 3
	s_mul_hi_u32 s15, s14, s8
	s_add_u32 s2, s10, s2
	s_addc_u32 s3, s11, s3
	s_lshl_b64 s[0:1], s[0:1], 3
	s_mul_i32 s13, s13, s8
	s_add_u32 s2, s2, s0
	v_mad_u64_u32 v[2:3], null, v0, s12, v[0:1]
	v_ashrrev_i32_e32 v1, 31, v0
	s_addc_u32 s3, s3, s1
	s_add_i32 s1, s15, s9
	s_mul_i32 s0, s14, s8
	s_add_i32 s1, s1, s13
	v_lshlrev_b64 v[0:1], 2, v[0:1]
	s_lshl_b64 s[0:1], s[0:1], 2
	v_ashrrev_i32_e32 v3, 31, v2
	s_add_u32 s4, s4, s0
	s_addc_u32 s5, s5, s1
	s_lshl_b64 s[0:1], s[6:7], 2
	s_delay_alu instid0(SALU_CYCLE_1)
	s_add_u32 s0, s4, s0
	s_addc_u32 s1, s5, s1
	v_add_co_u32 v0, vcc_lo, s0, v0
	v_add_co_ci_u32_e32 v1, vcc_lo, s1, v1, vcc_lo
	global_load_b32 v0, v[0:1], off
	v_lshlrev_b64 v[1:2], 3, v[2:3]
	s_delay_alu instid0(VALU_DEP_1) | instskip(NEXT) | instid1(VALU_DEP_2)
	v_add_co_u32 v3, vcc_lo, s2, v1
	v_add_co_ci_u32_e32 v4, vcc_lo, s3, v2, vcc_lo
	v_mov_b32_e32 v1, 0
	s_waitcnt vmcnt(0)
	global_store_b64 v[3:4], v[0:1], off
.LBB48_2:
	s_nop 0
	s_sendmsg sendmsg(MSG_DEALLOC_VGPRS)
	s_endpgm
	.section	.rodata,"a",@progbits
	.p2align	6, 0x0
	.amdhsa_kernel _ZN9rocsolver6v33100L12restore_diagI19rocblas_complex_numIfEifPS3_EEvPT1_llT2_lT0_lS8_
		.amdhsa_group_segment_fixed_size 0
		.amdhsa_private_segment_fixed_size 0
		.amdhsa_kernarg_size 320
		.amdhsa_user_sgpr_count 14
		.amdhsa_user_sgpr_dispatch_ptr 0
		.amdhsa_user_sgpr_queue_ptr 0
		.amdhsa_user_sgpr_kernarg_segment_ptr 1
		.amdhsa_user_sgpr_dispatch_id 0
		.amdhsa_user_sgpr_private_segment_size 0
		.amdhsa_wavefront_size32 1
		.amdhsa_uses_dynamic_stack 0
		.amdhsa_enable_private_segment 0
		.amdhsa_system_sgpr_workgroup_id_x 1
		.amdhsa_system_sgpr_workgroup_id_y 1
		.amdhsa_system_sgpr_workgroup_id_z 0
		.amdhsa_system_sgpr_workgroup_info 0
		.amdhsa_system_vgpr_workitem_id 1
		.amdhsa_next_free_vgpr 5
		.amdhsa_next_free_sgpr 17
		.amdhsa_reserve_vcc 1
		.amdhsa_float_round_mode_32 0
		.amdhsa_float_round_mode_16_64 0
		.amdhsa_float_denorm_mode_32 3
		.amdhsa_float_denorm_mode_16_64 3
		.amdhsa_dx10_clamp 1
		.amdhsa_ieee_mode 1
		.amdhsa_fp16_overflow 0
		.amdhsa_workgroup_processor_mode 1
		.amdhsa_memory_ordered 1
		.amdhsa_forward_progress 0
		.amdhsa_shared_vgpr_count 0
		.amdhsa_exception_fp_ieee_invalid_op 0
		.amdhsa_exception_fp_denorm_src 0
		.amdhsa_exception_fp_ieee_div_zero 0
		.amdhsa_exception_fp_ieee_overflow 0
		.amdhsa_exception_fp_ieee_underflow 0
		.amdhsa_exception_fp_ieee_inexact 0
		.amdhsa_exception_int_div_zero 0
	.end_amdhsa_kernel
	.section	.text._ZN9rocsolver6v33100L12restore_diagI19rocblas_complex_numIfEifPS3_EEvPT1_llT2_lT0_lS8_,"axG",@progbits,_ZN9rocsolver6v33100L12restore_diagI19rocblas_complex_numIfEifPS3_EEvPT1_llT2_lT0_lS8_,comdat
.Lfunc_end48:
	.size	_ZN9rocsolver6v33100L12restore_diagI19rocblas_complex_numIfEifPS3_EEvPT1_llT2_lT0_lS8_, .Lfunc_end48-_ZN9rocsolver6v33100L12restore_diagI19rocblas_complex_numIfEifPS3_EEvPT1_llT2_lT0_lS8_
                                        ; -- End function
	.section	.AMDGPU.csdata,"",@progbits
; Kernel info:
; codeLenInByte = 308
; NumSgprs: 19
; NumVgprs: 5
; ScratchSize: 0
; MemoryBound: 0
; FloatMode: 240
; IeeeMode: 1
; LDSByteSize: 0 bytes/workgroup (compile time only)
; SGPRBlocks: 2
; VGPRBlocks: 0
; NumSGPRsForWavesPerEU: 19
; NumVGPRsForWavesPerEU: 5
; Occupancy: 16
; WaveLimiterHint : 0
; COMPUTE_PGM_RSRC2:SCRATCH_EN: 0
; COMPUTE_PGM_RSRC2:USER_SGPR: 14
; COMPUTE_PGM_RSRC2:TRAP_HANDLER: 0
; COMPUTE_PGM_RSRC2:TGID_X_EN: 1
; COMPUTE_PGM_RSRC2:TGID_Y_EN: 1
; COMPUTE_PGM_RSRC2:TGID_Z_EN: 0
; COMPUTE_PGM_RSRC2:TIDIG_COMP_CNT: 1
	.section	.text._ZN9rocsolver6v33100L14set_triangularI19rocblas_complex_numIfEPS3_TnNSt9enable_ifIX18rocblas_is_complexIT_EEiE4typeELi0EEEviiT0_iilPS6_lSA_il15rocblas_direct_15rocblas_storev_b,"axG",@progbits,_ZN9rocsolver6v33100L14set_triangularI19rocblas_complex_numIfEPS3_TnNSt9enable_ifIX18rocblas_is_complexIT_EEiE4typeELi0EEEviiT0_iilPS6_lSA_il15rocblas_direct_15rocblas_storev_b,comdat
	.globl	_ZN9rocsolver6v33100L14set_triangularI19rocblas_complex_numIfEPS3_TnNSt9enable_ifIX18rocblas_is_complexIT_EEiE4typeELi0EEEviiT0_iilPS6_lSA_il15rocblas_direct_15rocblas_storev_b ; -- Begin function _ZN9rocsolver6v33100L14set_triangularI19rocblas_complex_numIfEPS3_TnNSt9enable_ifIX18rocblas_is_complexIT_EEiE4typeELi0EEEviiT0_iilPS6_lSA_il15rocblas_direct_15rocblas_storev_b
	.p2align	8
	.type	_ZN9rocsolver6v33100L14set_triangularI19rocblas_complex_numIfEPS3_TnNSt9enable_ifIX18rocblas_is_complexIT_EEiE4typeELi0EEEviiT0_iilPS6_lSA_il15rocblas_direct_15rocblas_storev_b,@function
_ZN9rocsolver6v33100L14set_triangularI19rocblas_complex_numIfEPS3_TnNSt9enable_ifIX18rocblas_is_complexIT_EEiE4typeELi0EEEviiT0_iilPS6_lSA_il15rocblas_direct_15rocblas_storev_b: ; @_ZN9rocsolver6v33100L14set_triangularI19rocblas_complex_numIfEPS3_TnNSt9enable_ifIX18rocblas_is_complexIT_EEiE4typeELi0EEEviiT0_iilPS6_lSA_il15rocblas_direct_15rocblas_storev_b
; %bb.0:
	s_clause 0x1
	s_load_b32 s2, s[0:1], 0x64
	s_load_b64 s[16:17], s[0:1], 0x0
	v_and_b32_e32 v2, 0x3ff, v0
	v_bfe_u32 v4, v0, 10, 10
	s_waitcnt lgkmcnt(0)
	s_lshr_b32 s3, s2, 16
	s_and_b32 s2, s2, 0xffff
	s_delay_alu instid0(SALU_CYCLE_1) | instskip(SKIP_2) | instid1(VALU_DEP_1)
	v_mad_u64_u32 v[0:1], null, s13, s2, v[2:3]
	v_mad_u64_u32 v[2:3], null, s14, s3, v[4:5]
	s_mov_b32 s2, exec_lo
	v_max_u32_e32 v1, v0, v2
	s_delay_alu instid0(VALU_DEP_1)
	v_cmpx_gt_u32_e64 s17, v1
	s_cbranch_execz .LBB49_36
; %bb.1:
	s_clause 0x2
	s_load_b256 s[4:11], s[0:1], 0x18
	s_load_b64 s[2:3], s[0:1], 0x40
	s_load_b32 s12, s[0:1], 0x38
	s_waitcnt lgkmcnt(0)
	s_mul_i32 s9, s15, s9
	s_mul_hi_u32 s13, s15, s8
	s_mul_i32 s8, s15, s8
	s_add_i32 s9, s13, s9
	s_mul_i32 s3, s15, s3
	s_lshl_b64 s[8:9], s[8:9], 3
	s_mul_hi_u32 s18, s15, s2
	s_add_u32 s13, s6, s8
	s_mul_i32 s2, s15, s2
	s_addc_u32 s14, s7, s9
	s_add_i32 s3, s18, s3
	s_delay_alu instid0(SALU_CYCLE_1) | instskip(NEXT) | instid1(SALU_CYCLE_1)
	s_lshl_b64 s[2:3], s[2:3], 3
	s_add_u32 s6, s10, s2
	s_addc_u32 s7, s11, s3
	s_mov_b32 s2, exec_lo
	v_cmpx_ne_u32_e64 v2, v0
	s_xor_b32 s18, exec_lo, s2
	s_cbranch_execz .LBB49_34
; %bb.2:
	s_clause 0x1
	s_load_b128 s[8:11], s[0:1], 0x8
	s_load_b128 s[0:3], s[0:1], 0x48
	s_waitcnt lgkmcnt(0)
	s_mul_i32 s3, s15, s5
	s_mul_hi_u32 s5, s15, s4
	s_mul_i32 s4, s15, s4
	s_add_i32 s5, s5, s3
	v_mov_b32_e32 v1, 0
	s_lshl_b64 s[4:5], s[4:5], 3
	s_ashr_i32 s21, s10, 31
	s_mov_b32 s20, s10
	s_add_u32 s3, s8, s4
	s_addc_u32 s8, s9, s5
	s_lshl_b64 s[4:5], s[20:21], 3
	s_delay_alu instid0(SALU_CYCLE_1) | instskip(SKIP_3) | instid1(SALU_CYCLE_1)
	s_add_u32 s3, s3, s4
	s_addc_u32 s4, s8, s5
	s_bitcmp1_b32 s2, 0
	s_cselect_b32 s2, -1, 0
	s_xor_b32 s2, s2, -1
	s_cmpk_lg_i32 s0, 0xab
	s_mov_b32 s0, -1
	s_cbranch_scc0 .LBB49_18
; %bb.3:
	s_mov_b32 s0, exec_lo
	v_cmpx_le_u32_e64 v2, v0
	s_xor_b32 s0, exec_lo, s0
	s_cbranch_execz .LBB49_5
; %bb.4:
	v_mad_u64_u32 v[4:5], null, v0, s12, 0
	s_ashr_i32 s5, s12, 31
	s_delay_alu instid0(VALU_DEP_1) | instskip(NEXT) | instid1(VALU_DEP_1)
	v_mov_b32_e32 v3, v5
	v_mad_u64_u32 v[5:6], null, v0, s5, v[3:4]
	v_mov_b32_e32 v3, 0
	s_delay_alu instid0(VALU_DEP_1) | instskip(NEXT) | instid1(VALU_DEP_3)
	v_lshlrev_b64 v[6:7], 3, v[2:3]
	v_lshlrev_b64 v[4:5], 3, v[4:5]
	s_delay_alu instid0(VALU_DEP_1) | instskip(NEXT) | instid1(VALU_DEP_2)
	v_add_co_u32 v8, vcc_lo, s6, v4
	v_add_co_ci_u32_e32 v5, vcc_lo, s7, v5, vcc_lo
	v_mov_b32_e32 v4, v3
	s_delay_alu instid0(VALU_DEP_3) | instskip(NEXT) | instid1(VALU_DEP_3)
	v_add_co_u32 v6, vcc_lo, v8, v6
	v_add_co_ci_u32_e32 v7, vcc_lo, v5, v7, vcc_lo
	v_mov_b32_e32 v5, v3
	global_store_b64 v[6:7], v[4:5], off
.LBB49_5:
	s_and_not1_saveexec_b32 s0, s0
	s_cbranch_execz .LBB49_17
; %bb.6:
	v_lshlrev_b64 v[3:4], 3, v[0:1]
	s_cmpk_lg_i32 s1, 0xb5
	s_mov_b32 s5, -1
	s_delay_alu instid0(VALU_DEP_1) | instskip(NEXT) | instid1(VALU_DEP_2)
	v_add_co_u32 v3, vcc_lo, s13, v3
	v_add_co_ci_u32_e32 v4, vcc_lo, s14, v4, vcc_lo
	global_load_b64 v[4:5], v[3:4], off
	s_cbranch_scc0 .LBB49_12
; %bb.7:
	v_mov_b32_e32 v3, 0
	s_and_not1_b32 vcc_lo, exec_lo, s2
	s_delay_alu instid0(VALU_DEP_1)
	v_lshlrev_b64 v[6:7], 3, v[2:3]
	s_cbranch_vccnz .LBB49_9
; %bb.8:
	s_sub_i32 s5, s16, s17
	s_delay_alu instid0(SALU_CYCLE_1) | instskip(SKIP_1) | instid1(VALU_DEP_1)
	v_add_nc_u32_e32 v11, s5, v0
	s_ashr_i32 s5, s11, 31
	v_mad_u64_u32 v[8:9], null, v11, s11, 0
	s_delay_alu instid0(VALU_DEP_1) | instskip(SKIP_1) | instid1(VALU_DEP_1)
	v_mov_b32_e32 v3, v9
	s_waitcnt vmcnt(0)
	v_mad_u64_u32 v[9:10], null, v11, s5, v[3:4]
	v_mad_u64_u32 v[10:11], null, v0, s12, 0
	s_ashr_i32 s5, s12, 31
	s_delay_alu instid0(VALU_DEP_2) | instskip(NEXT) | instid1(VALU_DEP_1)
	v_lshlrev_b64 v[8:9], 3, v[8:9]
	v_add_co_u32 v3, vcc_lo, s3, v8
	s_delay_alu instid0(VALU_DEP_2) | instskip(NEXT) | instid1(VALU_DEP_2)
	v_add_co_ci_u32_e32 v9, vcc_lo, s4, v9, vcc_lo
	v_add_co_u32 v8, vcc_lo, v3, v6
	s_delay_alu instid0(VALU_DEP_2) | instskip(SKIP_4) | instid1(VALU_DEP_1)
	v_add_co_ci_u32_e32 v9, vcc_lo, v9, v7, vcc_lo
	v_mov_b32_e32 v3, v11
	global_load_b64 v[8:9], v[8:9], off
	v_mad_u64_u32 v[11:12], null, v0, s5, v[3:4]
	s_mov_b32 s5, 0
	v_lshlrev_b64 v[10:11], 3, v[10:11]
	s_delay_alu instid0(VALU_DEP_1) | instskip(NEXT) | instid1(VALU_DEP_2)
	v_add_co_u32 v13, vcc_lo, s6, v10
	v_add_co_ci_u32_e32 v14, vcc_lo, s7, v11, vcc_lo
	s_delay_alu instid0(VALU_DEP_2) | instskip(SKIP_3) | instid1(VALU_DEP_2)
	v_add_co_u32 v11, vcc_lo, v13, v6
	s_waitcnt vmcnt(0)
	v_mul_f32_e32 v12, v4, v9
	v_mul_f32_e32 v3, v4, v8
	v_fma_f32 v10, v8, -v5, -v12
	s_delay_alu instid0(VALU_DEP_2)
	v_fma_f32 v9, v5, v9, -v3
	v_add_co_ci_u32_e32 v12, vcc_lo, v14, v7, vcc_lo
	global_store_b64 v[11:12], v[9:10], off
.LBB49_9:
	s_and_not1_b32 vcc_lo, exec_lo, s5
	s_cbranch_vccnz .LBB49_11
; %bb.10:
	v_mad_u64_u32 v[8:9], null, v0, s12, 0
	s_sub_i32 s5, s16, s17
	s_delay_alu instid0(SALU_CYCLE_1) | instskip(SKIP_1) | instid1(VALU_DEP_2)
	v_add_nc_u32_e32 v14, s5, v0
	s_ashr_i32 s5, s12, 31
	v_mov_b32_e32 v3, v9
	s_delay_alu instid0(VALU_DEP_2) | instskip(NEXT) | instid1(VALU_DEP_1)
	v_mad_u64_u32 v[10:11], null, v14, s11, 0
	v_mov_b32_e32 v9, v11
	s_waitcnt vmcnt(0)
	s_delay_alu instid0(VALU_DEP_3)
	v_mad_u64_u32 v[11:12], null, v0, s5, v[3:4]
	s_ashr_i32 s5, s11, 31
	s_delay_alu instid0(VALU_DEP_2) | instid1(SALU_CYCLE_1)
	v_mad_u64_u32 v[12:13], null, v14, s5, v[9:10]
	s_delay_alu instid0(VALU_DEP_2) | instskip(NEXT) | instid1(VALU_DEP_2)
	v_mov_b32_e32 v9, v11
	v_mov_b32_e32 v11, v12
	s_delay_alu instid0(VALU_DEP_2) | instskip(NEXT) | instid1(VALU_DEP_2)
	v_lshlrev_b64 v[8:9], 3, v[8:9]
	v_lshlrev_b64 v[10:11], 3, v[10:11]
	s_delay_alu instid0(VALU_DEP_2) | instskip(NEXT) | instid1(VALU_DEP_3)
	v_add_co_u32 v3, vcc_lo, s6, v8
	v_add_co_ci_u32_e32 v9, vcc_lo, s7, v9, vcc_lo
	s_delay_alu instid0(VALU_DEP_3) | instskip(NEXT) | instid1(VALU_DEP_4)
	v_add_co_u32 v10, vcc_lo, s3, v10
	v_add_co_ci_u32_e32 v11, vcc_lo, s4, v11, vcc_lo
	s_delay_alu instid0(VALU_DEP_4) | instskip(NEXT) | instid1(VALU_DEP_4)
	v_add_co_u32 v8, vcc_lo, v3, v6
	v_add_co_ci_u32_e32 v9, vcc_lo, v9, v7, vcc_lo
	s_delay_alu instid0(VALU_DEP_4) | instskip(NEXT) | instid1(VALU_DEP_4)
	v_add_co_u32 v6, vcc_lo, v10, v6
	v_add_co_ci_u32_e32 v7, vcc_lo, v11, v7, vcc_lo
	global_load_b64 v[10:11], v[8:9], off
	global_load_b64 v[6:7], v[6:7], off
	s_waitcnt vmcnt(0)
	v_dual_add_f32 v3, v6, v10 :: v_dual_add_f32 v6, v7, v11
	s_delay_alu instid0(VALU_DEP_1) | instskip(NEXT) | instid1(VALU_DEP_2)
	v_mul_f32_e32 v7, v4, v3
	v_mul_f32_e32 v10, v4, v6
	s_delay_alu instid0(VALU_DEP_2) | instskip(NEXT) | instid1(VALU_DEP_2)
	v_fma_f32 v6, v5, v6, -v7
	v_fma_f32 v7, v3, -v5, -v10
	global_store_b64 v[8:9], v[6:7], off
.LBB49_11:
	s_mov_b32 s5, 0
.LBB49_12:
	s_delay_alu instid0(SALU_CYCLE_1)
	s_and_not1_b32 vcc_lo, exec_lo, s5
	s_cbranch_vccnz .LBB49_17
; %bb.13:
	s_and_not1_b32 vcc_lo, exec_lo, s2
	s_mov_b32 s5, -1
	s_cbranch_vccnz .LBB49_15
; %bb.14:
	v_mad_u64_u32 v[6:7], null, v2, s11, 0
	s_ashr_i32 s5, s11, 31
	v_mov_b32_e32 v9, 0
	s_delay_alu instid0(VALU_DEP_2) | instskip(SKIP_1) | instid1(VALU_DEP_1)
	v_mov_b32_e32 v3, v7
	s_waitcnt vmcnt(0)
	v_mad_u64_u32 v[7:8], null, v2, s5, v[3:4]
	s_sub_i32 s5, s16, s17
	s_delay_alu instid0(SALU_CYCLE_1) | instskip(SKIP_1) | instid1(VALU_DEP_2)
	v_add_nc_u32_e32 v8, s5, v0
	s_ashr_i32 s5, s12, 31
	v_lshlrev_b64 v[6:7], 3, v[6:7]
	s_delay_alu instid0(VALU_DEP_2) | instskip(NEXT) | instid1(VALU_DEP_2)
	v_lshlrev_b64 v[10:11], 3, v[8:9]
	v_add_co_u32 v3, vcc_lo, s3, v6
	s_delay_alu instid0(VALU_DEP_3) | instskip(NEXT) | instid1(VALU_DEP_2)
	v_add_co_ci_u32_e32 v7, vcc_lo, s4, v7, vcc_lo
	v_add_co_u32 v6, vcc_lo, v3, v10
	s_delay_alu instid0(VALU_DEP_2) | instskip(SKIP_3) | instid1(VALU_DEP_1)
	v_add_co_ci_u32_e32 v7, vcc_lo, v7, v11, vcc_lo
	v_mad_u64_u32 v[10:11], null, v0, s12, 0
	global_load_b64 v[6:7], v[6:7], off
	v_mov_b32_e32 v3, v11
	v_mad_u64_u32 v[11:12], null, v0, s5, v[3:4]
	s_mov_b32 s5, 0
	s_waitcnt vmcnt(0)
	v_mul_f32_e32 v12, v5, v6
	v_mov_b32_e32 v3, v9
	s_delay_alu instid0(VALU_DEP_3) | instskip(NEXT) | instid1(VALU_DEP_2)
	v_lshlrev_b64 v[8:9], 3, v[10:11]
	v_lshlrev_b64 v[10:11], 3, v[2:3]
	v_mul_f32_e32 v3, v5, v7
	s_delay_alu instid0(VALU_DEP_3) | instskip(NEXT) | instid1(VALU_DEP_4)
	v_add_co_u32 v8, vcc_lo, s6, v8
	v_add_co_ci_u32_e32 v9, vcc_lo, s7, v9, vcc_lo
	s_delay_alu instid0(VALU_DEP_3) | instskip(NEXT) | instid1(VALU_DEP_3)
	v_fma_f32 v6, v6, -v4, -v3
	v_add_co_u32 v8, vcc_lo, v8, v10
	v_fma_f32 v7, v4, v7, -v12
	s_delay_alu instid0(VALU_DEP_4)
	v_add_co_ci_u32_e32 v9, vcc_lo, v9, v11, vcc_lo
	global_store_b64 v[8:9], v[6:7], off
.LBB49_15:
	s_and_not1_b32 vcc_lo, exec_lo, s5
	s_cbranch_vccnz .LBB49_17
; %bb.16:
	v_mad_u64_u32 v[6:7], null, v2, s11, 0
	v_mad_u64_u32 v[8:9], null, v0, s12, 0
	s_ashr_i32 s5, s11, 31
	s_delay_alu instid0(VALU_DEP_2) | instskip(NEXT) | instid1(VALU_DEP_2)
	v_mov_b32_e32 v3, v7
	v_mov_b32_e32 v7, v9
	s_waitcnt vmcnt(0)
	s_delay_alu instid0(VALU_DEP_2) | instskip(SKIP_2) | instid1(VALU_DEP_1)
	v_mad_u64_u32 v[9:10], null, v2, s5, v[3:4]
	v_mov_b32_e32 v3, 0
	s_ashr_i32 s5, s12, 31
	v_mov_b32_e32 v12, v3
	v_mad_u64_u32 v[10:11], null, v0, s5, v[7:8]
	s_delay_alu instid0(VALU_DEP_4) | instskip(SKIP_3) | instid1(VALU_DEP_3)
	v_mov_b32_e32 v7, v9
	s_sub_i32 s5, s16, s17
	v_lshlrev_b64 v[13:14], 3, v[2:3]
	v_add_nc_u32_e32 v11, s5, v0
	v_lshlrev_b64 v[6:7], 3, v[6:7]
	v_mov_b32_e32 v9, v10
	s_delay_alu instid0(VALU_DEP_3) | instskip(NEXT) | instid1(VALU_DEP_2)
	v_lshlrev_b64 v[10:11], 3, v[11:12]
	v_lshlrev_b64 v[8:9], 3, v[8:9]
	s_delay_alu instid0(VALU_DEP_4) | instskip(SKIP_1) | instid1(VALU_DEP_3)
	v_add_co_u32 v3, vcc_lo, s3, v6
	v_add_co_ci_u32_e32 v7, vcc_lo, s4, v7, vcc_lo
	v_add_co_u32 v8, vcc_lo, s6, v8
	s_delay_alu instid0(VALU_DEP_4) | instskip(NEXT) | instid1(VALU_DEP_4)
	v_add_co_ci_u32_e32 v9, vcc_lo, s7, v9, vcc_lo
	v_add_co_u32 v6, vcc_lo, v3, v10
	s_delay_alu instid0(VALU_DEP_4) | instskip(NEXT) | instid1(VALU_DEP_4)
	v_add_co_ci_u32_e32 v7, vcc_lo, v7, v11, vcc_lo
	v_add_co_u32 v8, vcc_lo, v8, v13
	s_delay_alu instid0(VALU_DEP_4) | instskip(SKIP_4) | instid1(VALU_DEP_1)
	v_add_co_ci_u32_e32 v9, vcc_lo, v9, v14, vcc_lo
	global_load_b64 v[6:7], v[6:7], off
	global_load_b64 v[10:11], v[8:9], off
	s_waitcnt vmcnt(0)
	v_dual_add_f32 v6, v6, v10 :: v_dual_sub_f32 v3, v11, v7
	v_mul_f32_e32 v7, v4, v6
	s_delay_alu instid0(VALU_DEP_2) | instskip(NEXT) | instid1(VALU_DEP_2)
	v_mul_f32_e32 v4, v4, v3
	v_fma_f32 v3, v5, v3, -v7
	s_delay_alu instid0(VALU_DEP_2)
	v_fma_f32 v4, v6, -v5, -v4
	global_store_b64 v[8:9], v[3:4], off
.LBB49_17:
	s_or_b32 exec_lo, exec_lo, s0
	s_mov_b32 s0, 0
.LBB49_18:
	s_delay_alu instid0(SALU_CYCLE_1)
	s_and_not1_b32 vcc_lo, exec_lo, s0
	s_cbranch_vccnz .LBB49_34
; %bb.19:
	s_mov_b32 s0, exec_lo
	v_cmpx_ge_u32_e64 v2, v0
	s_xor_b32 s0, exec_lo, s0
	s_cbranch_execz .LBB49_21
; %bb.20:
	s_waitcnt vmcnt(0)
	v_mad_u64_u32 v[4:5], null, v0, s12, 0
	v_mov_b32_e32 v3, 0
	s_ashr_i32 s5, s12, 31
	s_delay_alu instid0(VALU_DEP_2) | instskip(NEXT) | instid1(VALU_DEP_1)
	v_mov_b32_e32 v1, v5
	v_mad_u64_u32 v[5:6], null, v0, s5, v[1:2]
	s_delay_alu instid0(VALU_DEP_1) | instskip(SKIP_2) | instid1(VALU_DEP_3)
	v_lshlrev_b64 v[0:1], 3, v[4:5]
	v_lshlrev_b64 v[4:5], 3, v[2:3]
	v_mov_b32_e32 v2, v3
	v_add_co_u32 v0, vcc_lo, s6, v0
	s_delay_alu instid0(VALU_DEP_4) | instskip(NEXT) | instid1(VALU_DEP_2)
	v_add_co_ci_u32_e32 v1, vcc_lo, s7, v1, vcc_lo
	v_add_co_u32 v0, vcc_lo, v0, v4
	s_delay_alu instid0(VALU_DEP_2)
	v_add_co_ci_u32_e32 v1, vcc_lo, v1, v5, vcc_lo
	global_store_b64 v[0:1], v[2:3], off
                                        ; implicit-def: $vgpr0_vgpr1
                                        ; implicit-def: $vgpr2_vgpr3
.LBB49_21:
	s_and_not1_saveexec_b32 s0, s0
	s_cbranch_execz .LBB49_33
; %bb.22:
	v_lshlrev_b64 v[6:7], 3, v[0:1]
	v_cndmask_b32_e64 v1, 0, 1, s2
	s_cmpk_lg_i32 s1, 0xb5
	s_mov_b32 s1, -1
	s_delay_alu instid0(VALU_DEP_2)
	v_add_co_u32 v3, vcc_lo, s13, v6
	s_waitcnt vmcnt(0)
	v_add_co_ci_u32_e32 v4, vcc_lo, s14, v7, vcc_lo
	v_cmp_ne_u32_e32 vcc_lo, 1, v1
	global_load_b64 v[4:5], v[3:4], off
	s_cbranch_scc0 .LBB49_28
; %bb.23:
	v_mov_b32_e32 v3, 0
	s_and_b32 vcc_lo, exec_lo, vcc_lo
	s_delay_alu instid0(VALU_DEP_1)
	v_lshlrev_b64 v[8:9], 3, v[2:3]
	s_cbranch_vccnz .LBB49_25
; %bb.24:
	v_mad_u64_u32 v[10:11], null, v0, s11, 0
	s_ashr_i32 s1, s11, 31
	s_delay_alu instid0(VALU_DEP_1) | instskip(NEXT) | instid1(VALU_DEP_1)
	v_mov_b32_e32 v1, v11
	v_mad_u64_u32 v[11:12], null, v0, s1, v[1:2]
	v_mad_u64_u32 v[12:13], null, v0, s12, 0
	s_ashr_i32 s1, s12, 31
	s_delay_alu instid0(VALU_DEP_2) | instskip(NEXT) | instid1(VALU_DEP_1)
	v_lshlrev_b64 v[10:11], 3, v[10:11]
	v_add_co_u32 v1, vcc_lo, s3, v10
	s_delay_alu instid0(VALU_DEP_2) | instskip(NEXT) | instid1(VALU_DEP_2)
	v_add_co_ci_u32_e32 v3, vcc_lo, s4, v11, vcc_lo
	v_add_co_u32 v10, vcc_lo, v1, v8
	s_delay_alu instid0(VALU_DEP_2) | instskip(SKIP_4) | instid1(VALU_DEP_1)
	v_add_co_ci_u32_e32 v11, vcc_lo, v3, v9, vcc_lo
	v_mov_b32_e32 v1, v13
	global_load_b64 v[10:11], v[10:11], off
	v_mad_u64_u32 v[13:14], null, v0, s1, v[1:2]
	s_mov_b32 s1, 0
	v_lshlrev_b64 v[12:13], 3, v[12:13]
	s_delay_alu instid0(VALU_DEP_1) | instskip(NEXT) | instid1(VALU_DEP_2)
	v_add_co_u32 v14, vcc_lo, s6, v12
	v_add_co_ci_u32_e32 v15, vcc_lo, s7, v13, vcc_lo
	s_delay_alu instid0(VALU_DEP_2) | instskip(NEXT) | instid1(VALU_DEP_2)
	v_add_co_u32 v13, vcc_lo, v14, v8
	v_add_co_ci_u32_e32 v14, vcc_lo, v15, v9, vcc_lo
	s_waitcnt vmcnt(0)
	v_mul_f32_e32 v1, v4, v10
	v_mul_f32_e32 v3, v4, v11
	s_delay_alu instid0(VALU_DEP_2) | instskip(NEXT) | instid1(VALU_DEP_2)
	v_fma_f32 v11, v5, v11, -v1
	v_fma_f32 v12, v10, -v5, -v3
	global_store_b64 v[13:14], v[11:12], off
.LBB49_25:
	s_and_not1_b32 vcc_lo, exec_lo, s1
	s_cbranch_vccnz .LBB49_27
; %bb.26:
	v_mad_u64_u32 v[10:11], null, v0, s12, 0
	v_mad_u64_u32 v[12:13], null, v0, s11, 0
	s_ashr_i32 s1, s12, 31
	s_delay_alu instid0(VALU_DEP_2) | instskip(NEXT) | instid1(VALU_DEP_2)
	v_mov_b32_e32 v1, v11
	v_mov_b32_e32 v3, v13
	s_delay_alu instid0(VALU_DEP_2) | instskip(SKIP_2) | instid1(VALU_DEP_2)
	v_mad_u64_u32 v[13:14], null, v0, s1, v[1:2]
	s_ashr_i32 s1, s11, 31
	s_waitcnt vmcnt(0)
	v_mad_u64_u32 v[14:15], null, v0, s1, v[3:4]
	s_delay_alu instid0(VALU_DEP_2) | instskip(NEXT) | instid1(VALU_DEP_2)
	v_mov_b32_e32 v11, v13
	v_mov_b32_e32 v13, v14
	s_delay_alu instid0(VALU_DEP_2) | instskip(NEXT) | instid1(VALU_DEP_2)
	v_lshlrev_b64 v[10:11], 3, v[10:11]
	v_lshlrev_b64 v[12:13], 3, v[12:13]
	s_delay_alu instid0(VALU_DEP_2) | instskip(NEXT) | instid1(VALU_DEP_3)
	v_add_co_u32 v1, vcc_lo, s6, v10
	v_add_co_ci_u32_e32 v3, vcc_lo, s7, v11, vcc_lo
	s_delay_alu instid0(VALU_DEP_3) | instskip(NEXT) | instid1(VALU_DEP_4)
	v_add_co_u32 v12, vcc_lo, s3, v12
	v_add_co_ci_u32_e32 v13, vcc_lo, s4, v13, vcc_lo
	s_delay_alu instid0(VALU_DEP_4) | instskip(NEXT) | instid1(VALU_DEP_4)
	v_add_co_u32 v10, vcc_lo, v1, v8
	v_add_co_ci_u32_e32 v11, vcc_lo, v3, v9, vcc_lo
	s_delay_alu instid0(VALU_DEP_4) | instskip(NEXT) | instid1(VALU_DEP_4)
	v_add_co_u32 v8, vcc_lo, v12, v8
	v_add_co_ci_u32_e32 v9, vcc_lo, v13, v9, vcc_lo
	global_load_b64 v[12:13], v[10:11], off
	global_load_b64 v[8:9], v[8:9], off
	s_waitcnt vmcnt(0)
	v_add_f32_e32 v1, v8, v12
	v_add_f32_e32 v3, v9, v13
	s_delay_alu instid0(VALU_DEP_2) | instskip(NEXT) | instid1(VALU_DEP_2)
	v_mul_f32_e32 v8, v4, v1
	v_mul_f32_e32 v9, v4, v3
	s_delay_alu instid0(VALU_DEP_2) | instskip(NEXT) | instid1(VALU_DEP_2)
	v_fma_f32 v8, v5, v3, -v8
	v_fma_f32 v9, v1, -v5, -v9
	global_store_b64 v[10:11], v[8:9], off
.LBB49_27:
	s_mov_b32 s1, 0
.LBB49_28:
	s_delay_alu instid0(SALU_CYCLE_1)
	s_and_not1_b32 vcc_lo, exec_lo, s1
	s_cbranch_vccnz .LBB49_33
; %bb.29:
	v_mov_b32_e32 v3, 0
	s_and_not1_b32 vcc_lo, exec_lo, s2
	s_mov_b32 s1, -1
	s_delay_alu instid0(VALU_DEP_1)
	v_lshlrev_b64 v[8:9], 3, v[2:3]
	s_cbranch_vccnz .LBB49_31
; %bb.30:
	v_mad_u64_u32 v[10:11], null, v2, s11, 0
	s_ashr_i32 s1, s11, 31
	s_delay_alu instid0(VALU_DEP_1) | instskip(NEXT) | instid1(VALU_DEP_1)
	v_mov_b32_e32 v1, v11
	v_mad_u64_u32 v[11:12], null, v2, s1, v[1:2]
	v_mad_u64_u32 v[12:13], null, v0, s12, 0
	s_ashr_i32 s1, s12, 31
	s_delay_alu instid0(VALU_DEP_2) | instskip(NEXT) | instid1(VALU_DEP_1)
	v_lshlrev_b64 v[10:11], 3, v[10:11]
	v_add_co_u32 v1, vcc_lo, s3, v10
	s_delay_alu instid0(VALU_DEP_2) | instskip(NEXT) | instid1(VALU_DEP_2)
	v_add_co_ci_u32_e32 v3, vcc_lo, s4, v11, vcc_lo
	v_add_co_u32 v10, vcc_lo, v1, v6
	s_delay_alu instid0(VALU_DEP_2) | instskip(SKIP_4) | instid1(VALU_DEP_1)
	v_add_co_ci_u32_e32 v11, vcc_lo, v3, v7, vcc_lo
	v_mov_b32_e32 v1, v13
	global_load_b64 v[10:11], v[10:11], off
	v_mad_u64_u32 v[13:14], null, v0, s1, v[1:2]
	s_mov_b32 s1, 0
	v_lshlrev_b64 v[12:13], 3, v[12:13]
	s_delay_alu instid0(VALU_DEP_1) | instskip(NEXT) | instid1(VALU_DEP_2)
	v_add_co_u32 v12, vcc_lo, s6, v12
	v_add_co_ci_u32_e32 v13, vcc_lo, s7, v13, vcc_lo
	s_delay_alu instid0(VALU_DEP_2) | instskip(NEXT) | instid1(VALU_DEP_2)
	v_add_co_u32 v12, vcc_lo, v12, v8
	v_add_co_ci_u32_e32 v13, vcc_lo, v13, v9, vcc_lo
	s_waitcnt vmcnt(0)
	v_mul_f32_e32 v1, v5, v11
	v_mul_f32_e32 v3, v5, v10
	s_delay_alu instid0(VALU_DEP_2) | instskip(NEXT) | instid1(VALU_DEP_2)
	v_fma_f32 v10, v10, -v4, -v1
	v_fma_f32 v11, v4, v11, -v3
	global_store_b64 v[12:13], v[10:11], off
.LBB49_31:
	s_and_not1_b32 vcc_lo, exec_lo, s1
	s_cbranch_vccnz .LBB49_33
; %bb.32:
	v_mad_u64_u32 v[10:11], null, v2, s11, 0
	v_mad_u64_u32 v[12:13], null, v0, s12, 0
	s_ashr_i32 s1, s11, 31
	s_delay_alu instid0(VALU_DEP_2) | instskip(NEXT) | instid1(VALU_DEP_2)
	v_mov_b32_e32 v1, v11
	v_mov_b32_e32 v3, v13
	s_delay_alu instid0(VALU_DEP_2) | instskip(SKIP_2) | instid1(VALU_DEP_2)
	v_mad_u64_u32 v[13:14], null, v2, s1, v[1:2]
	s_ashr_i32 s1, s12, 31
	s_waitcnt vmcnt(0)
	v_mad_u64_u32 v[1:2], null, v0, s1, v[3:4]
	s_delay_alu instid0(VALU_DEP_2) | instskip(NEXT) | instid1(VALU_DEP_2)
	v_mov_b32_e32 v11, v13
	v_mov_b32_e32 v13, v1
	s_delay_alu instid0(VALU_DEP_2) | instskip(NEXT) | instid1(VALU_DEP_2)
	v_lshlrev_b64 v[0:1], 3, v[10:11]
	v_lshlrev_b64 v[2:3], 3, v[12:13]
	s_delay_alu instid0(VALU_DEP_2) | instskip(NEXT) | instid1(VALU_DEP_3)
	v_add_co_u32 v0, vcc_lo, s3, v0
	v_add_co_ci_u32_e32 v1, vcc_lo, s4, v1, vcc_lo
	s_delay_alu instid0(VALU_DEP_3) | instskip(NEXT) | instid1(VALU_DEP_4)
	v_add_co_u32 v2, vcc_lo, s6, v2
	v_add_co_ci_u32_e32 v3, vcc_lo, s7, v3, vcc_lo
	s_delay_alu instid0(VALU_DEP_4) | instskip(NEXT) | instid1(VALU_DEP_4)
	v_add_co_u32 v0, vcc_lo, v0, v6
	v_add_co_ci_u32_e32 v1, vcc_lo, v1, v7, vcc_lo
	s_delay_alu instid0(VALU_DEP_4) | instskip(NEXT) | instid1(VALU_DEP_4)
	v_add_co_u32 v2, vcc_lo, v2, v8
	v_add_co_ci_u32_e32 v3, vcc_lo, v3, v9, vcc_lo
	global_load_b64 v[0:1], v[0:1], off
	global_load_b64 v[6:7], v[2:3], off
	s_waitcnt vmcnt(0)
	v_add_f32_e32 v6, v0, v6
	s_delay_alu instid0(VALU_DEP_1) | instskip(NEXT) | instid1(VALU_DEP_1)
	v_dual_sub_f32 v0, v7, v1 :: v_dual_mul_f32 v1, v4, v6
	v_mul_f32_e32 v4, v4, v0
	s_delay_alu instid0(VALU_DEP_2) | instskip(NEXT) | instid1(VALU_DEP_2)
	v_fma_f32 v0, v5, v0, -v1
	v_fma_f32 v1, v6, -v5, -v4
	global_store_b64 v[2:3], v[0:1], off
.LBB49_33:
	s_or_b32 exec_lo, exec_lo, s0
                                        ; implicit-def: $vgpr0_vgpr1
.LBB49_34:
	s_and_not1_saveexec_b32 s0, s18
	s_cbranch_execz .LBB49_36
; %bb.35:
	s_waitcnt vmcnt(0)
	v_mad_u64_u32 v[5:6], null, v0, s12, 0
	s_ashr_i32 s0, s12, 31
	s_delay_alu instid0(VALU_DEP_1) | instid1(SALU_CYCLE_1)
	v_mad_u64_u32 v[7:8], null, v0, s0, v[6:7]
	s_delay_alu instid0(VALU_DEP_1) | instskip(NEXT) | instid1(VALU_DEP_1)
	v_dual_mov_b32 v1, 0 :: v_dual_mov_b32 v6, v7
	v_lshlrev_b64 v[1:2], 3, v[0:1]
	s_delay_alu instid0(VALU_DEP_2) | instskip(NEXT) | instid1(VALU_DEP_2)
	v_lshlrev_b64 v[5:6], 3, v[5:6]
	v_add_co_u32 v3, vcc_lo, s13, v1
	s_delay_alu instid0(VALU_DEP_3) | instskip(NEXT) | instid1(VALU_DEP_3)
	v_add_co_ci_u32_e32 v4, vcc_lo, s14, v2, vcc_lo
	v_add_co_u32 v0, vcc_lo, s6, v5
	s_delay_alu instid0(VALU_DEP_4)
	v_add_co_ci_u32_e32 v5, vcc_lo, s7, v6, vcc_lo
	global_load_b64 v[3:4], v[3:4], off
	v_add_co_u32 v0, vcc_lo, v0, v1
	v_add_co_ci_u32_e32 v1, vcc_lo, v5, v2, vcc_lo
	s_waitcnt vmcnt(0)
	global_store_b64 v[0:1], v[3:4], off
.LBB49_36:
	s_nop 0
	s_sendmsg sendmsg(MSG_DEALLOC_VGPRS)
	s_endpgm
	.section	.rodata,"a",@progbits
	.p2align	6, 0x0
	.amdhsa_kernel _ZN9rocsolver6v33100L14set_triangularI19rocblas_complex_numIfEPS3_TnNSt9enable_ifIX18rocblas_is_complexIT_EEiE4typeELi0EEEviiT0_iilPS6_lSA_il15rocblas_direct_15rocblas_storev_b
		.amdhsa_group_segment_fixed_size 0
		.amdhsa_private_segment_fixed_size 0
		.amdhsa_kernarg_size 344
		.amdhsa_user_sgpr_count 13
		.amdhsa_user_sgpr_dispatch_ptr 0
		.amdhsa_user_sgpr_queue_ptr 0
		.amdhsa_user_sgpr_kernarg_segment_ptr 1
		.amdhsa_user_sgpr_dispatch_id 0
		.amdhsa_user_sgpr_private_segment_size 0
		.amdhsa_wavefront_size32 1
		.amdhsa_uses_dynamic_stack 0
		.amdhsa_enable_private_segment 0
		.amdhsa_system_sgpr_workgroup_id_x 1
		.amdhsa_system_sgpr_workgroup_id_y 1
		.amdhsa_system_sgpr_workgroup_id_z 1
		.amdhsa_system_sgpr_workgroup_info 0
		.amdhsa_system_vgpr_workitem_id 1
		.amdhsa_next_free_vgpr 16
		.amdhsa_next_free_sgpr 22
		.amdhsa_reserve_vcc 1
		.amdhsa_float_round_mode_32 0
		.amdhsa_float_round_mode_16_64 0
		.amdhsa_float_denorm_mode_32 3
		.amdhsa_float_denorm_mode_16_64 3
		.amdhsa_dx10_clamp 1
		.amdhsa_ieee_mode 1
		.amdhsa_fp16_overflow 0
		.amdhsa_workgroup_processor_mode 1
		.amdhsa_memory_ordered 1
		.amdhsa_forward_progress 0
		.amdhsa_shared_vgpr_count 0
		.amdhsa_exception_fp_ieee_invalid_op 0
		.amdhsa_exception_fp_denorm_src 0
		.amdhsa_exception_fp_ieee_div_zero 0
		.amdhsa_exception_fp_ieee_overflow 0
		.amdhsa_exception_fp_ieee_underflow 0
		.amdhsa_exception_fp_ieee_inexact 0
		.amdhsa_exception_int_div_zero 0
	.end_amdhsa_kernel
	.section	.text._ZN9rocsolver6v33100L14set_triangularI19rocblas_complex_numIfEPS3_TnNSt9enable_ifIX18rocblas_is_complexIT_EEiE4typeELi0EEEviiT0_iilPS6_lSA_il15rocblas_direct_15rocblas_storev_b,"axG",@progbits,_ZN9rocsolver6v33100L14set_triangularI19rocblas_complex_numIfEPS3_TnNSt9enable_ifIX18rocblas_is_complexIT_EEiE4typeELi0EEEviiT0_iilPS6_lSA_il15rocblas_direct_15rocblas_storev_b,comdat
.Lfunc_end49:
	.size	_ZN9rocsolver6v33100L14set_triangularI19rocblas_complex_numIfEPS3_TnNSt9enable_ifIX18rocblas_is_complexIT_EEiE4typeELi0EEEviiT0_iilPS6_lSA_il15rocblas_direct_15rocblas_storev_b, .Lfunc_end49-_ZN9rocsolver6v33100L14set_triangularI19rocblas_complex_numIfEPS3_TnNSt9enable_ifIX18rocblas_is_complexIT_EEiE4typeELi0EEEviiT0_iilPS6_lSA_il15rocblas_direct_15rocblas_storev_b
                                        ; -- End function
	.section	.AMDGPU.csdata,"",@progbits
; Kernel info:
; codeLenInByte = 2748
; NumSgprs: 24
; NumVgprs: 16
; ScratchSize: 0
; MemoryBound: 0
; FloatMode: 240
; IeeeMode: 1
; LDSByteSize: 0 bytes/workgroup (compile time only)
; SGPRBlocks: 2
; VGPRBlocks: 1
; NumSGPRsForWavesPerEU: 24
; NumVGPRsForWavesPerEU: 16
; Occupancy: 16
; WaveLimiterHint : 0
; COMPUTE_PGM_RSRC2:SCRATCH_EN: 0
; COMPUTE_PGM_RSRC2:USER_SGPR: 13
; COMPUTE_PGM_RSRC2:TRAP_HANDLER: 0
; COMPUTE_PGM_RSRC2:TGID_X_EN: 1
; COMPUTE_PGM_RSRC2:TGID_Y_EN: 1
; COMPUTE_PGM_RSRC2:TGID_Z_EN: 1
; COMPUTE_PGM_RSRC2:TIDIG_COMP_CNT: 1
	.section	.text._ZN9rocsolver6v33100L7set_tauI19rocblas_complex_numIfEEEviPT_l,"axG",@progbits,_ZN9rocsolver6v33100L7set_tauI19rocblas_complex_numIfEEEviPT_l,comdat
	.globl	_ZN9rocsolver6v33100L7set_tauI19rocblas_complex_numIfEEEviPT_l ; -- Begin function _ZN9rocsolver6v33100L7set_tauI19rocblas_complex_numIfEEEviPT_l
	.p2align	8
	.type	_ZN9rocsolver6v33100L7set_tauI19rocblas_complex_numIfEEEviPT_l,@function
_ZN9rocsolver6v33100L7set_tauI19rocblas_complex_numIfEEEviPT_l: ; @_ZN9rocsolver6v33100L7set_tauI19rocblas_complex_numIfEEEviPT_l
; %bb.0:
	s_clause 0x1
	s_load_b32 s2, s[0:1], 0x24
	s_load_b32 s3, s[0:1], 0x0
	s_waitcnt lgkmcnt(0)
	s_and_b32 s2, s2, 0xffff
	s_delay_alu instid0(SALU_CYCLE_1) | instskip(SKIP_1) | instid1(VALU_DEP_1)
	v_mad_u64_u32 v[1:2], null, s14, s2, v[0:1]
	s_mov_b32 s2, exec_lo
	v_cmpx_gt_u32_e64 s3, v1
	s_cbranch_execz .LBB50_2
; %bb.1:
	s_load_b128 s[0:3], s[0:1], 0x8
	v_mov_b32_e32 v2, 0
	s_delay_alu instid0(VALU_DEP_1)
	v_lshlrev_b64 v[0:1], 3, v[1:2]
	s_waitcnt lgkmcnt(0)
	s_mul_i32 s3, s15, s3
	s_mul_hi_u32 s4, s15, s2
	s_mul_i32 s2, s15, s2
	s_add_i32 s3, s4, s3
	s_delay_alu instid0(SALU_CYCLE_1) | instskip(NEXT) | instid1(SALU_CYCLE_1)
	s_lshl_b64 s[2:3], s[2:3], 3
	s_add_u32 s0, s0, s2
	s_addc_u32 s1, s1, s3
	v_add_co_u32 v0, vcc_lo, s0, v0
	v_add_co_ci_u32_e32 v1, vcc_lo, s1, v1, vcc_lo
	global_load_b64 v[2:3], v[0:1], off
	s_waitcnt vmcnt(0)
	v_xor_b32_e32 v2, 0x80000000, v2
	v_xor_b32_e32 v3, 0x80000000, v3
	global_store_b64 v[0:1], v[2:3], off
.LBB50_2:
	s_nop 0
	s_sendmsg sendmsg(MSG_DEALLOC_VGPRS)
	s_endpgm
	.section	.rodata,"a",@progbits
	.p2align	6, 0x0
	.amdhsa_kernel _ZN9rocsolver6v33100L7set_tauI19rocblas_complex_numIfEEEviPT_l
		.amdhsa_group_segment_fixed_size 0
		.amdhsa_private_segment_fixed_size 0
		.amdhsa_kernarg_size 280
		.amdhsa_user_sgpr_count 14
		.amdhsa_user_sgpr_dispatch_ptr 0
		.amdhsa_user_sgpr_queue_ptr 0
		.amdhsa_user_sgpr_kernarg_segment_ptr 1
		.amdhsa_user_sgpr_dispatch_id 0
		.amdhsa_user_sgpr_private_segment_size 0
		.amdhsa_wavefront_size32 1
		.amdhsa_uses_dynamic_stack 0
		.amdhsa_enable_private_segment 0
		.amdhsa_system_sgpr_workgroup_id_x 1
		.amdhsa_system_sgpr_workgroup_id_y 1
		.amdhsa_system_sgpr_workgroup_id_z 0
		.amdhsa_system_sgpr_workgroup_info 0
		.amdhsa_system_vgpr_workitem_id 0
		.amdhsa_next_free_vgpr 4
		.amdhsa_next_free_sgpr 16
		.amdhsa_reserve_vcc 1
		.amdhsa_float_round_mode_32 0
		.amdhsa_float_round_mode_16_64 0
		.amdhsa_float_denorm_mode_32 3
		.amdhsa_float_denorm_mode_16_64 3
		.amdhsa_dx10_clamp 1
		.amdhsa_ieee_mode 1
		.amdhsa_fp16_overflow 0
		.amdhsa_workgroup_processor_mode 1
		.amdhsa_memory_ordered 1
		.amdhsa_forward_progress 0
		.amdhsa_shared_vgpr_count 0
		.amdhsa_exception_fp_ieee_invalid_op 0
		.amdhsa_exception_fp_denorm_src 0
		.amdhsa_exception_fp_ieee_div_zero 0
		.amdhsa_exception_fp_ieee_overflow 0
		.amdhsa_exception_fp_ieee_underflow 0
		.amdhsa_exception_fp_ieee_inexact 0
		.amdhsa_exception_int_div_zero 0
	.end_amdhsa_kernel
	.section	.text._ZN9rocsolver6v33100L7set_tauI19rocblas_complex_numIfEEEviPT_l,"axG",@progbits,_ZN9rocsolver6v33100L7set_tauI19rocblas_complex_numIfEEEviPT_l,comdat
.Lfunc_end50:
	.size	_ZN9rocsolver6v33100L7set_tauI19rocblas_complex_numIfEEEviPT_l, .Lfunc_end50-_ZN9rocsolver6v33100L7set_tauI19rocblas_complex_numIfEEEviPT_l
                                        ; -- End function
	.section	.AMDGPU.csdata,"",@progbits
; Kernel info:
; codeLenInByte = 180
; NumSgprs: 18
; NumVgprs: 4
; ScratchSize: 0
; MemoryBound: 0
; FloatMode: 240
; IeeeMode: 1
; LDSByteSize: 0 bytes/workgroup (compile time only)
; SGPRBlocks: 2
; VGPRBlocks: 0
; NumSGPRsForWavesPerEU: 18
; NumVGPRsForWavesPerEU: 4
; Occupancy: 16
; WaveLimiterHint : 0
; COMPUTE_PGM_RSRC2:SCRATCH_EN: 0
; COMPUTE_PGM_RSRC2:USER_SGPR: 14
; COMPUTE_PGM_RSRC2:TRAP_HANDLER: 0
; COMPUTE_PGM_RSRC2:TGID_X_EN: 1
; COMPUTE_PGM_RSRC2:TGID_Y_EN: 1
; COMPUTE_PGM_RSRC2:TGID_Z_EN: 0
; COMPUTE_PGM_RSRC2:TIDIG_COMP_CNT: 0
	.section	.text._ZN9rocsolver6v33100L20larft_kernel_forwardI19rocblas_complex_numIfEPS3_EEv15rocblas_storev_iiT0_iilPT_lS8_il,"axG",@progbits,_ZN9rocsolver6v33100L20larft_kernel_forwardI19rocblas_complex_numIfEPS3_EEv15rocblas_storev_iiT0_iilPT_lS8_il,comdat
	.globl	_ZN9rocsolver6v33100L20larft_kernel_forwardI19rocblas_complex_numIfEPS3_EEv15rocblas_storev_iiT0_iilPT_lS8_il ; -- Begin function _ZN9rocsolver6v33100L20larft_kernel_forwardI19rocblas_complex_numIfEPS3_EEv15rocblas_storev_iiT0_iilPT_lS8_il
	.p2align	8
	.type	_ZN9rocsolver6v33100L20larft_kernel_forwardI19rocblas_complex_numIfEPS3_EEv15rocblas_storev_iiT0_iilPT_lS8_il,@function
_ZN9rocsolver6v33100L20larft_kernel_forwardI19rocblas_complex_numIfEPS3_EEv15rocblas_storev_iiT0_iilPT_lS8_il: ; @_ZN9rocsolver6v33100L20larft_kernel_forwardI19rocblas_complex_numIfEPS3_EEv15rocblas_storev_iiT0_iilPT_lS8_il
; %bb.0:
	s_clause 0x4
	s_load_b64 s[20:21], s[0:1], 0x48
	s_load_b128 s[16:19], s[0:1], 0x0
	s_load_b32 s13, s[0:1], 0x5c
	s_load_b256 s[4:11], s[0:1], 0x20
	s_load_b32 s3, s[0:1], 0x40
	s_ashr_i32 s12, s15, 31
	v_lshlrev_b32_e32 v6, 3, v0
	s_waitcnt lgkmcnt(0)
	s_mul_i32 s2, s15, s21
	s_mul_hi_u32 s14, s15, s20
	s_mul_i32 s19, s12, s20
	s_add_i32 s2, s14, s2
	s_mul_i32 s20, s15, s20
	s_add_i32 s21, s2, s19
	v_cmp_gt_i32_e64 s2, s18, v0
	s_lshl_b64 s[20:21], s[20:21], 3
	s_and_b32 s19, s13, 0xffff
	s_add_u32 s26, s10, s20
	s_addc_u32 s27, s11, s21
	s_and_saveexec_b32 s10, s2
	s_cbranch_execz .LBB51_5
; %bb.1:
	v_add_nc_u32_e32 v1, 8, v6
	s_lshl_b32 s13, s18, 3
	v_mov_b32_e32 v5, v0
	s_add_i32 s14, s13, 8
	s_add_i32 s20, s3, 1
	v_mul_lo_u32 v3, s18, v1
	v_mad_u64_u32 v[1:2], null, v0, s3, v[0:1]
	s_mov_b32 s11, 0
	s_mul_i32 s14, s14, s19
	s_mul_i32 s20, s20, s19
	s_delay_alu instid0(VALU_DEP_2)
	v_add3_u32 v4, v3, v6, 0
	.p2align	6
.LBB51_2:                               ; =>This Loop Header: Depth=1
                                        ;     Child Loop BB51_3 Depth 2
	s_delay_alu instid0(VALU_DEP_1)
	v_dual_mov_b32 v2, v1 :: v_dual_mov_b32 v7, v4
	v_mov_b32_e32 v8, v5
	s_mov_b32 s21, 0
	.p2align	6
.LBB51_3:                               ;   Parent Loop BB51_2 Depth=1
                                        ; =>  This Inner Loop Header: Depth=2
	s_delay_alu instid0(VALU_DEP_2) | instskip(NEXT) | instid1(VALU_DEP_2)
	v_ashrrev_i32_e32 v3, 31, v2
	v_add_nc_u32_e32 v8, 1, v8
	s_delay_alu instid0(VALU_DEP_2) | instskip(SKIP_1) | instid1(VALU_DEP_2)
	v_lshlrev_b64 v[9:10], 3, v[2:3]
	v_add_nc_u32_e32 v2, s3, v2
	v_add_co_u32 v9, vcc_lo, s26, v9
	s_delay_alu instid0(VALU_DEP_3)
	v_add_co_ci_u32_e32 v10, vcc_lo, s27, v10, vcc_lo
	v_cmp_le_i32_e32 vcc_lo, s18, v8
	global_load_b64 v[9:10], v[9:10], off
	s_or_b32 s21, vcc_lo, s21
	s_waitcnt vmcnt(0)
	ds_store_b64 v7, v[9:10]
	v_add_nc_u32_e32 v7, s13, v7
	s_and_not1_b32 exec_lo, exec_lo, s21
	s_cbranch_execnz .LBB51_3
; %bb.4:                                ;   in Loop: Header=BB51_2 Depth=1
	s_or_b32 exec_lo, exec_lo, s21
	v_add_nc_u32_e32 v5, s19, v5
	v_add_nc_u32_e32 v4, s14, v4
	;; [unrolled: 1-line block ×3, first 2 shown]
	s_delay_alu instid0(VALU_DEP_3) | instskip(SKIP_1) | instid1(SALU_CYCLE_1)
	v_cmp_le_i32_e32 vcc_lo, s18, v5
	s_or_b32 s11, vcc_lo, s11
	s_and_not1_b32 exec_lo, exec_lo, s11
	s_cbranch_execnz .LBB51_2
.LBB51_5:
	s_or_b32 exec_lo, exec_lo, s10
	s_cmp_lt_i32 s18, 2
	s_waitcnt lgkmcnt(0)
	s_barrier
	buffer_gl0_inv
	s_cbranch_scc1 .LBB51_29
; %bb.6:
	s_load_b128 s[20:23], s[0:1], 0x10
	s_mul_i32 s1, s15, s9
	s_mul_hi_u32 s10, s15, s8
	s_mul_i32 s11, s12, s8
	s_add_i32 s1, s10, s1
	s_mul_i32 s0, s15, s8
	s_add_i32 s1, s1, s11
	s_mul_i32 s12, s4, s12
	s_lshl_b64 s[0:1], s[0:1], 3
	s_mul_hi_u32 s13, s4, s15
	s_mul_i32 s5, s5, s15
	v_add_nc_u32_e32 v3, 8, v6
	s_mul_i32 s4, s4, s15
	v_add_nc_u32_e32 v9, 0, v6
	s_mov_b32 s9, 0
	s_mov_b32 s8, 1
	v_mul_lo_u32 v3, s18, v3
	s_waitcnt lgkmcnt(0)
	s_ashr_i32 s11, s22, 31
	s_add_u32 s28, s6, s0
	s_addc_u32 s29, s7, s1
	s_lshl_b32 s30, s18, 3
	s_mov_b32 s10, s22
	s_add_i32 s31, s30, 0
	s_cmpk_lg_i32 s16, 0xb5
	s_mov_b32 s0, s23
	s_cselect_b32 s16, -1, 0
	s_add_i32 s1, s13, s12
	s_lshl_b64 s[12:13], s[10:11], 3
	s_add_i32 s5, s1, s5
	v_mul_lo_u32 v7, v0, s23
	s_lshl_b64 s[4:5], s[4:5], 3
	s_add_u32 s22, s20, s12
	s_addc_u32 s33, s21, s13
	s_ashr_i32 s1, s23, 31
	s_lshl_b32 s6, s23, 1
	s_lshl_b64 s[10:11], s[0:1], 3
	v_add_co_u32 v1, s0, s4, v6
	s_lshl_b32 s34, s19, 3
	v_add_co_ci_u32_e64 v2, null, s5, 0, s0
	s_add_u32 s0, s4, s12
	s_addc_u32 s1, s5, s13
	s_add_u32 s0, s0, s20
	s_addc_u32 s1, s1, s21
	s_add_u32 s12, s0, 16
	v_add3_u32 v8, v3, v6, 0
	s_addc_u32 s13, s1, 0
	s_add_i32 s36, s30, 8
	s_mul_i32 s35, s23, s19
	s_mul_i32 s36, s36, s19
	s_mov_b32 s14, s23
	s_branch .LBB51_8
.LBB51_7:                               ;   in Loop: Header=BB51_8 Depth=1
	s_set_inst_prefetch_distance 0x2
	s_or_b32 exec_lo, exec_lo, s0
	s_add_i32 s8, s8, 1
	s_add_u32 s4, s4, 8
	s_addc_u32 s5, s5, 0
	s_add_i32 s6, s6, s23
	s_add_u32 s12, s12, 8
	s_addc_u32 s13, s13, 0
	s_add_i32 s14, s14, s23
	s_cmp_eq_u32 s8, s18
	s_waitcnt lgkmcnt(0)
	s_barrier
	buffer_gl0_inv
	s_cbranch_scc1 .LBB51_29
.LBB51_8:                               ; =>This Loop Header: Depth=1
                                        ;     Child Loop BB51_12 Depth 2
                                        ;       Child Loop BB51_14 Depth 3
                                        ;     Child Loop BB51_20 Depth 2
                                        ;       Child Loop BB51_22 Depth 3
	;; [unrolled: 2-line block ×3, first 2 shown]
	s_mul_i32 s0, s8, s18
	s_not_b32 s38, s8
	s_lshl_b32 s0, s0, 3
	s_add_i32 s38, s38, s17
	s_add_i32 s37, s31, s0
	v_cmp_gt_u32_e64 s0, s8, v0
	s_and_b32 vcc_lo, exec_lo, s16
	s_mov_b32 s1, -1
	s_cbranch_vccz .LBB51_16
; %bb.9:                                ;   in Loop: Header=BB51_8 Depth=1
	s_delay_alu instid0(VALU_DEP_1)
	s_and_saveexec_b32 s15, s0
	s_cbranch_execz .LBB51_15
; %bb.10:                               ;   in Loop: Header=BB51_8 Depth=1
	s_ashr_i32 s7, s6, 31
	v_dual_mov_b32 v4, v2 :: v_dual_mov_b32 v3, v1
	s_lshl_b64 s[0:1], s[6:7], 3
	v_mov_b32_e32 v5, v0
	s_add_u32 s20, s22, s0
	s_addc_u32 s21, s33, s1
	s_cmp_gt_i32 s38, 0
	s_mov_b32 s39, 0
	s_cselect_b32 s7, -1, 0
	s_lshl_b64 s[0:1], s[8:9], 3
	s_delay_alu instid0(SALU_CYCLE_1)
	s_add_u32 s0, s28, s0
	s_addc_u32 s1, s29, s1
	s_load_b64 s[24:25], s[0:1], 0x0
	s_branch .LBB51_12
.LBB51_11:                              ;   in Loop: Header=BB51_12 Depth=2
	s_waitcnt lgkmcnt(0)
	s_delay_alu instid0(VALU_DEP_1) | instskip(SKIP_2) | instid1(VALU_DEP_3)
	v_dual_mul_f32 v15, s25, v10 :: v_dual_lshlrev_b32 v14, 3, v5
	v_dual_mul_f32 v16, s25, v11 :: v_dual_add_nc_u32 v5, s19, v5
	v_add_co_u32 v3, s0, v3, s34
	v_fma_f32 v11, v11, s24, -v15
	s_delay_alu instid0(VALU_DEP_3)
	v_fmac_f32_e32 v16, s24, v10
	v_add_nc_u32_e32 v12, s37, v14
	v_cmp_le_u32_e32 vcc_lo, s8, v5
	v_add_nc_u32_e32 v14, 0, v14
	v_add_co_ci_u32_e64 v4, s0, 0, v4, s0
	ds_load_b64 v[12:13], v12
	s_or_b32 s39, vcc_lo, s39
	s_waitcnt lgkmcnt(0)
	v_dual_add_f32 v10, v12, v11 :: v_dual_add_f32 v11, v13, v16
	ds_store_b64 v14, v[10:11]
	s_and_not1_b32 exec_lo, exec_lo, s39
	s_cbranch_execz .LBB51_15
.LBB51_12:                              ;   Parent Loop BB51_8 Depth=1
                                        ; =>  This Loop Header: Depth=2
                                        ;       Child Loop BB51_14 Depth 3
	v_dual_mov_b32 v10, 0 :: v_dual_mov_b32 v11, 0
	s_and_not1_b32 vcc_lo, exec_lo, s7
	s_cbranch_vccnz .LBB51_11
; %bb.13:                               ;   in Loop: Header=BB51_12 Depth=2
	v_dual_mov_b32 v10, 0 :: v_dual_mov_b32 v11, 0
	s_mov_b32 s40, 0
	s_mov_b64 s[0:1], s[20:21]
	.p2align	6
.LBB51_14:                              ;   Parent Loop BB51_8 Depth=1
                                        ;     Parent Loop BB51_12 Depth=2
                                        ; =>    This Inner Loop Header: Depth=3
	s_delay_alu instid0(SALU_CYCLE_1)
	v_add_co_u32 v12, vcc_lo, s0, v3
	v_add_co_ci_u32_e32 v13, vcc_lo, s1, v4, vcc_lo
	s_add_u32 s42, s0, s4
	s_addc_u32 s43, s1, s5
	s_add_i32 s40, s40, 1
	s_load_b64 s[42:43], s[42:43], 0x8
	global_load_b64 v[12:13], v[12:13], off
	s_add_u32 s0, s0, s10
	s_addc_u32 s1, s1, s11
	s_cmp_ge_i32 s40, s38
	s_waitcnt vmcnt(0) lgkmcnt(0)
	v_dual_mul_f32 v14, s43, v13 :: v_dual_mul_f32 v15, s43, v12
	s_delay_alu instid0(VALU_DEP_1) | instskip(NEXT) | instid1(VALU_DEP_2)
	v_fmac_f32_e32 v14, s42, v12
	v_fma_f32 v12, s42, v13, -v15
	s_delay_alu instid0(VALU_DEP_1)
	v_dual_add_f32 v11, v11, v14 :: v_dual_add_f32 v10, v10, v12
	s_cbranch_scc0 .LBB51_14
	s_branch .LBB51_11
.LBB51_15:                              ;   in Loop: Header=BB51_8 Depth=1
	s_or_b32 exec_lo, exec_lo, s15
	s_mov_b32 s1, 0
.LBB51_16:                              ;   in Loop: Header=BB51_8 Depth=1
	s_delay_alu instid0(SALU_CYCLE_1)
	s_and_not1_b32 vcc_lo, exec_lo, s1
	s_cbranch_vccnz .LBB51_24
; %bb.17:                               ;   in Loop: Header=BB51_8 Depth=1
	s_mov_b32 s7, exec_lo
	v_cmpx_gt_u32_e64 s8, v0
	s_cbranch_execz .LBB51_23
; %bb.18:                               ;   in Loop: Header=BB51_8 Depth=1
	s_ashr_i32 s15, s14, 31
	v_dual_mov_b32 v3, v7 :: v_dual_mov_b32 v10, v0
	s_lshl_b64 s[0:1], s[14:15], 3
	s_cmp_gt_i32 s38, 0
	s_mov_b32 s39, 0
	s_cselect_b32 s15, -1, 0
	s_lshl_b64 s[20:21], s[8:9], 3
	s_delay_alu instid0(SALU_CYCLE_1)
	s_add_u32 s20, s28, s20
	s_addc_u32 s21, s29, s21
	s_load_b64 s[20:21], s[20:21], 0x0
	s_branch .LBB51_20
.LBB51_19:                              ;   in Loop: Header=BB51_20 Depth=2
	s_waitcnt lgkmcnt(0)
	s_delay_alu instid0(VALU_DEP_1) | instskip(SKIP_2) | instid1(VALU_DEP_3)
	v_dual_mul_f32 v14, s21, v11 :: v_dual_lshlrev_b32 v13, 3, v10
	v_add_nc_u32_e32 v3, s35, v3
	v_dual_mul_f32 v15, s21, v12 :: v_dual_add_nc_u32 v10, s19, v10
	v_add_nc_u32_e32 v4, s37, v13
	s_delay_alu instid0(VALU_DEP_4) | instskip(NEXT) | instid1(VALU_DEP_3)
	v_fma_f32 v12, v12, s20, -v14
	v_fmac_f32_e32 v15, s20, v11
	s_delay_alu instid0(VALU_DEP_4)
	v_cmp_le_u32_e32 vcc_lo, s8, v10
	ds_load_b64 v[4:5], v4
	v_add_nc_u32_e32 v11, 0, v13
	s_or_b32 s39, vcc_lo, s39
	s_waitcnt lgkmcnt(0)
	v_dual_add_f32 v4, v4, v12 :: v_dual_add_f32 v5, v5, v15
	ds_store_b64 v11, v[4:5]
	s_and_not1_b32 exec_lo, exec_lo, s39
	s_cbranch_execz .LBB51_23
.LBB51_20:                              ;   Parent Loop BB51_8 Depth=1
                                        ; =>  This Loop Header: Depth=2
                                        ;       Child Loop BB51_22 Depth 3
	v_dual_mov_b32 v11, 0 :: v_dual_mov_b32 v12, 0
	s_and_not1_b32 vcc_lo, exec_lo, s15
	s_cbranch_vccnz .LBB51_19
; %bb.21:                               ;   in Loop: Header=BB51_20 Depth=2
	v_ashrrev_i32_e32 v4, 31, v3
	v_dual_mov_b32 v11, 0 :: v_dual_mov_b32 v12, 0
	s_mov_b32 s40, 0
	s_mov_b64 s[24:25], s[12:13]
	s_delay_alu instid0(VALU_DEP_2)
	v_lshlrev_b64 v[4:5], 3, v[3:4]
	.p2align	6
.LBB51_22:                              ;   Parent Loop BB51_8 Depth=1
                                        ;     Parent Loop BB51_20 Depth=2
                                        ; =>    This Inner Loop Header: Depth=3
	s_delay_alu instid0(VALU_DEP_1) | instskip(NEXT) | instid1(VALU_DEP_2)
	v_add_co_u32 v13, vcc_lo, s24, v4
	v_add_co_ci_u32_e32 v14, vcc_lo, s25, v5, vcc_lo
	s_add_u32 s42, s24, s0
	s_addc_u32 s43, s25, s1
	s_add_i32 s40, s40, 1
	global_load_b64 v[13:14], v[13:14], off
	s_load_b64 s[42:43], s[42:43], 0x0
	s_add_u32 s24, s24, 8
	s_addc_u32 s25, s25, 0
	s_cmp_ge_i32 s40, s38
	s_waitcnt vmcnt(0) lgkmcnt(0)
	v_mul_f32_e32 v15, s43, v14
	s_delay_alu instid0(VALU_DEP_1) | instskip(NEXT) | instid1(VALU_DEP_1)
	v_dual_mul_f32 v14, s42, v14 :: v_dual_fmac_f32 v15, s42, v13
	v_fma_f32 v13, v13, s43, -v14
	s_delay_alu instid0(VALU_DEP_1)
	v_dual_add_f32 v12, v12, v15 :: v_dual_add_f32 v11, v11, v13
	s_cbranch_scc0 .LBB51_22
	s_branch .LBB51_19
.LBB51_23:                              ;   in Loop: Header=BB51_8 Depth=1
	s_or_b32 exec_lo, exec_lo, s7
.LBB51_24:                              ;   in Loop: Header=BB51_8 Depth=1
	s_delay_alu instid0(SALU_CYCLE_1)
	s_mov_b32 s0, exec_lo
	s_waitcnt lgkmcnt(0)
	s_barrier
	buffer_gl0_inv
	v_cmpx_gt_u32_e64 s8, v0
	s_cbranch_execz .LBB51_7
; %bb.25:                               ;   in Loop: Header=BB51_8 Depth=1
	v_dual_mov_b32 v5, v9 :: v_dual_mov_b32 v10, v8
	v_mov_b32_e32 v11, v0
	s_mov_b32 s1, 0
	s_set_inst_prefetch_distance 0x1
	.p2align	6
.LBB51_26:                              ;   Parent Loop BB51_8 Depth=1
                                        ; =>  This Loop Header: Depth=2
                                        ;       Child Loop BB51_27 Depth 3
	s_delay_alu instid0(VALU_DEP_2) | instskip(NEXT) | instid1(VALU_DEP_2)
	v_dual_mov_b32 v3, 0 :: v_dual_mov_b32 v12, v5
	v_dual_mov_b32 v13, v10 :: v_dual_mov_b32 v14, v11
	v_mov_b32_e32 v4, 0
	s_mov_b32 s7, 0
	.p2align	6
.LBB51_27:                              ;   Parent Loop BB51_8 Depth=1
                                        ;     Parent Loop BB51_26 Depth=2
                                        ; =>    This Inner Loop Header: Depth=3
	ds_load_b64 v[15:16], v13
	ds_load_b64 v[17:18], v12
	v_add_nc_u32_e32 v12, 8, v12
	v_add_nc_u32_e32 v14, 1, v14
	;; [unrolled: 1-line block ×3, first 2 shown]
	s_delay_alu instid0(VALU_DEP_2) | instskip(SKIP_4) | instid1(VALU_DEP_2)
	v_cmp_le_u32_e32 vcc_lo, s8, v14
	s_or_b32 s7, vcc_lo, s7
	s_waitcnt lgkmcnt(0)
	v_mul_f32_e32 v19, v18, v16
	v_mul_f32_e32 v16, v17, v16
	v_fma_f32 v17, v17, v15, -v19
	s_delay_alu instid0(VALU_DEP_1) | instskip(NEXT) | instid1(VALU_DEP_1)
	v_dual_fmac_f32 v16, v18, v15 :: v_dual_add_f32 v3, v3, v17
	v_add_f32_e32 v4, v4, v16
	s_and_not1_b32 exec_lo, exec_lo, s7
	s_cbranch_execnz .LBB51_27
; %bb.28:                               ;   in Loop: Header=BB51_26 Depth=2
	s_or_b32 exec_lo, exec_lo, s7
	v_lshl_add_u32 v12, v11, 3, s37
	v_add_nc_u32_e32 v11, s19, v11
	v_add_nc_u32_e32 v10, s36, v10
	;; [unrolled: 1-line block ×3, first 2 shown]
	ds_store_b64 v12, v[3:4]
	v_cmp_le_u32_e32 vcc_lo, s8, v11
	s_or_b32 s1, vcc_lo, s1
	s_delay_alu instid0(SALU_CYCLE_1)
	s_and_not1_b32 exec_lo, exec_lo, s1
	s_cbranch_execnz .LBB51_26
	s_branch .LBB51_7
.LBB51_29:
	s_and_saveexec_b32 s0, s2
	s_cbranch_execz .LBB51_34
; %bb.30:
	v_add_nc_u32_e32 v1, 8, v6
	s_lshl_b32 s2, s18, 3
	s_add_i32 s1, s3, 1
	s_add_i32 s5, s2, 8
	s_mul_i32 s1, s1, s19
	v_mul_lo_u32 v3, s18, v1
	v_mad_u64_u32 v[1:2], null, v0, s3, v[0:1]
	s_mov_b32 s4, 0
	s_mul_i32 s5, s5, s19
	s_delay_alu instid0(VALU_DEP_2)
	v_add3_u32 v4, v3, v6, 0
	.p2align	6
.LBB51_31:                              ; =>This Loop Header: Depth=1
                                        ;     Child Loop BB51_32 Depth 2
	s_delay_alu instid0(VALU_DEP_1)
	v_dual_mov_b32 v5, v4 :: v_dual_mov_b32 v2, v1
	v_mov_b32_e32 v6, v0
	s_mov_b32 s6, 0
	.p2align	6
.LBB51_32:                              ;   Parent Loop BB51_31 Depth=1
                                        ; =>  This Inner Loop Header: Depth=2
	ds_load_b64 v[7:8], v5
	v_ashrrev_i32_e32 v3, 31, v2
	v_add_nc_u32_e32 v6, 1, v6
	v_add_nc_u32_e32 v5, s2, v5
	s_delay_alu instid0(VALU_DEP_3) | instskip(NEXT) | instid1(VALU_DEP_3)
	v_lshlrev_b64 v[9:10], 3, v[2:3]
	v_cmp_le_i32_e32 vcc_lo, s18, v6
	v_add_nc_u32_e32 v2, s3, v2
	s_or_b32 s6, vcc_lo, s6
	s_delay_alu instid0(VALU_DEP_3) | instskip(NEXT) | instid1(VALU_DEP_1)
	v_add_co_u32 v9, s0, s26, v9
	v_add_co_ci_u32_e64 v10, s0, s27, v10, s0
	s_waitcnt lgkmcnt(0)
	global_store_b64 v[9:10], v[7:8], off
	s_and_not1_b32 exec_lo, exec_lo, s6
	s_cbranch_execnz .LBB51_32
; %bb.33:                               ;   in Loop: Header=BB51_31 Depth=1
	s_or_b32 exec_lo, exec_lo, s6
	v_add_nc_u32_e32 v0, s19, v0
	v_add_nc_u32_e32 v1, s1, v1
	;; [unrolled: 1-line block ×3, first 2 shown]
	s_delay_alu instid0(VALU_DEP_3) | instskip(SKIP_1) | instid1(SALU_CYCLE_1)
	v_cmp_le_i32_e32 vcc_lo, s18, v0
	s_or_b32 s4, vcc_lo, s4
	s_and_not1_b32 exec_lo, exec_lo, s4
	s_cbranch_execnz .LBB51_31
.LBB51_34:
	s_nop 0
	s_sendmsg sendmsg(MSG_DEALLOC_VGPRS)
	s_endpgm
	.section	.rodata,"a",@progbits
	.p2align	6, 0x0
	.amdhsa_kernel _ZN9rocsolver6v33100L20larft_kernel_forwardI19rocblas_complex_numIfEPS3_EEv15rocblas_storev_iiT0_iilPT_lS8_il
		.amdhsa_group_segment_fixed_size 0
		.amdhsa_private_segment_fixed_size 0
		.amdhsa_kernarg_size 336
		.amdhsa_user_sgpr_count 14
		.amdhsa_user_sgpr_dispatch_ptr 0
		.amdhsa_user_sgpr_queue_ptr 0
		.amdhsa_user_sgpr_kernarg_segment_ptr 1
		.amdhsa_user_sgpr_dispatch_id 0
		.amdhsa_user_sgpr_private_segment_size 0
		.amdhsa_wavefront_size32 1
		.amdhsa_uses_dynamic_stack 0
		.amdhsa_enable_private_segment 0
		.amdhsa_system_sgpr_workgroup_id_x 1
		.amdhsa_system_sgpr_workgroup_id_y 1
		.amdhsa_system_sgpr_workgroup_id_z 0
		.amdhsa_system_sgpr_workgroup_info 0
		.amdhsa_system_vgpr_workitem_id 0
		.amdhsa_next_free_vgpr 20
		.amdhsa_next_free_sgpr 44
		.amdhsa_reserve_vcc 1
		.amdhsa_float_round_mode_32 0
		.amdhsa_float_round_mode_16_64 0
		.amdhsa_float_denorm_mode_32 3
		.amdhsa_float_denorm_mode_16_64 3
		.amdhsa_dx10_clamp 1
		.amdhsa_ieee_mode 1
		.amdhsa_fp16_overflow 0
		.amdhsa_workgroup_processor_mode 1
		.amdhsa_memory_ordered 1
		.amdhsa_forward_progress 0
		.amdhsa_shared_vgpr_count 0
		.amdhsa_exception_fp_ieee_invalid_op 0
		.amdhsa_exception_fp_denorm_src 0
		.amdhsa_exception_fp_ieee_div_zero 0
		.amdhsa_exception_fp_ieee_overflow 0
		.amdhsa_exception_fp_ieee_underflow 0
		.amdhsa_exception_fp_ieee_inexact 0
		.amdhsa_exception_int_div_zero 0
	.end_amdhsa_kernel
	.section	.text._ZN9rocsolver6v33100L20larft_kernel_forwardI19rocblas_complex_numIfEPS3_EEv15rocblas_storev_iiT0_iilPT_lS8_il,"axG",@progbits,_ZN9rocsolver6v33100L20larft_kernel_forwardI19rocblas_complex_numIfEPS3_EEv15rocblas_storev_iiT0_iilPT_lS8_il,comdat
.Lfunc_end51:
	.size	_ZN9rocsolver6v33100L20larft_kernel_forwardI19rocblas_complex_numIfEPS3_EEv15rocblas_storev_iiT0_iilPT_lS8_il, .Lfunc_end51-_ZN9rocsolver6v33100L20larft_kernel_forwardI19rocblas_complex_numIfEPS3_EEv15rocblas_storev_iiT0_iilPT_lS8_il
                                        ; -- End function
	.section	.AMDGPU.csdata,"",@progbits
; Kernel info:
; codeLenInByte = 1788
; NumSgprs: 46
; NumVgprs: 20
; ScratchSize: 0
; MemoryBound: 0
; FloatMode: 240
; IeeeMode: 1
; LDSByteSize: 0 bytes/workgroup (compile time only)
; SGPRBlocks: 5
; VGPRBlocks: 2
; NumSGPRsForWavesPerEU: 46
; NumVGPRsForWavesPerEU: 20
; Occupancy: 16
; WaveLimiterHint : 0
; COMPUTE_PGM_RSRC2:SCRATCH_EN: 0
; COMPUTE_PGM_RSRC2:USER_SGPR: 14
; COMPUTE_PGM_RSRC2:TRAP_HANDLER: 0
; COMPUTE_PGM_RSRC2:TGID_X_EN: 1
; COMPUTE_PGM_RSRC2:TGID_Y_EN: 1
; COMPUTE_PGM_RSRC2:TGID_Z_EN: 0
; COMPUTE_PGM_RSRC2:TIDIG_COMP_CNT: 0
	.section	.text._ZN9rocsolver6v33100L21larft_kernel_backwardI19rocblas_complex_numIfEPS3_EEv15rocblas_storev_iiT0_iilPT_lS8_il,"axG",@progbits,_ZN9rocsolver6v33100L21larft_kernel_backwardI19rocblas_complex_numIfEPS3_EEv15rocblas_storev_iiT0_iilPT_lS8_il,comdat
	.globl	_ZN9rocsolver6v33100L21larft_kernel_backwardI19rocblas_complex_numIfEPS3_EEv15rocblas_storev_iiT0_iilPT_lS8_il ; -- Begin function _ZN9rocsolver6v33100L21larft_kernel_backwardI19rocblas_complex_numIfEPS3_EEv15rocblas_storev_iiT0_iilPT_lS8_il
	.p2align	8
	.type	_ZN9rocsolver6v33100L21larft_kernel_backwardI19rocblas_complex_numIfEPS3_EEv15rocblas_storev_iiT0_iilPT_lS8_il,@function
_ZN9rocsolver6v33100L21larft_kernel_backwardI19rocblas_complex_numIfEPS3_EEv15rocblas_storev_iiT0_iilPT_lS8_il: ; @_ZN9rocsolver6v33100L21larft_kernel_backwardI19rocblas_complex_numIfEPS3_EEv15rocblas_storev_iiT0_iilPT_lS8_il
; %bb.0:
	s_clause 0x4
	s_load_b64 s[20:21], s[0:1], 0x48
	s_load_b128 s[16:19], s[0:1], 0x0
	s_load_b32 s13, s[0:1], 0x5c
	s_load_b256 s[4:11], s[0:1], 0x20
	s_load_b32 s3, s[0:1], 0x40
	s_ashr_i32 s12, s15, 31
	v_add_nc_u32_e32 v6, 1, v0
	v_lshlrev_b32_e32 v7, 3, v0
	s_waitcnt lgkmcnt(0)
	s_mul_i32 s2, s15, s21
	s_mul_hi_u32 s14, s15, s20
	s_mul_i32 s19, s12, s20
	s_add_i32 s2, s14, s2
	s_mul_i32 s20, s15, s20
	s_add_i32 s21, s2, s19
	v_cmp_gt_i32_e64 s2, s18, v0
	s_lshl_b64 s[20:21], s[20:21], 3
	s_and_b32 s19, s13, 0xffff
	s_add_u32 s24, s10, s20
	s_addc_u32 s25, s11, s21
	s_and_saveexec_b32 s10, s2
	s_cbranch_execz .LBB52_5
; %bb.1:
	s_lshl_b32 s11, s18, 3
	v_add_nc_u32_e32 v3, 1, v0
	v_add3_u32 v4, 0, s11, v7
	v_mov_b32_e32 v5, v0
	s_mov_b32 s13, 0
	s_lshl_b32 s14, s19, 3
	.p2align	6
.LBB52_2:                               ; =>This Loop Header: Depth=1
                                        ;     Child Loop BB52_3 Depth 2
	s_delay_alu instid0(VALU_DEP_1)
	v_dual_mov_b32 v1, v5 :: v_dual_mov_b32 v8, v4
	s_mov_b32 s20, 0
	s_mov_b32 s21, 0
	.p2align	6
.LBB52_3:                               ;   Parent Loop BB52_2 Depth=1
                                        ; =>  This Inner Loop Header: Depth=2
	s_delay_alu instid0(VALU_DEP_1) | instskip(SKIP_1) | instid1(VALU_DEP_1)
	v_ashrrev_i32_e32 v2, 31, v1
	s_add_i32 s21, s21, 1
	v_lshlrev_b64 v[9:10], 3, v[1:2]
	v_add_nc_u32_e32 v1, s3, v1
	s_delay_alu instid0(VALU_DEP_2) | instskip(NEXT) | instid1(VALU_DEP_3)
	v_add_co_u32 v9, vcc_lo, s24, v9
	v_add_co_ci_u32_e32 v10, vcc_lo, s25, v10, vcc_lo
	v_cmp_eq_u32_e32 vcc_lo, s21, v3
	global_load_b64 v[9:10], v[9:10], off
	s_or_b32 s20, vcc_lo, s20
	s_waitcnt vmcnt(0)
	ds_store_b64 v8, v[9:10]
	v_add_nc_u32_e32 v8, s11, v8
	s_and_not1_b32 exec_lo, exec_lo, s20
	s_cbranch_execnz .LBB52_3
; %bb.4:                                ;   in Loop: Header=BB52_2 Depth=1
	s_or_b32 exec_lo, exec_lo, s20
	v_add_nc_u32_e32 v5, s19, v5
	v_add_nc_u32_e32 v3, s19, v3
	;; [unrolled: 1-line block ×3, first 2 shown]
	s_delay_alu instid0(VALU_DEP_3) | instskip(SKIP_1) | instid1(SALU_CYCLE_1)
	v_cmp_le_i32_e32 vcc_lo, s18, v5
	s_or_b32 s13, vcc_lo, s13
	s_and_not1_b32 exec_lo, exec_lo, s13
	s_cbranch_execnz .LBB52_2
.LBB52_5:
	s_or_b32 exec_lo, exec_lo, s10
	s_cmp_lt_i32 s18, 2
	s_waitcnt lgkmcnt(0)
	s_barrier
	buffer_gl0_inv
	s_cbranch_scc1 .LBB52_29
; %bb.6:
	s_load_b128 s[20:23], s[0:1], 0x10
	s_mul_i32 s1, s15, s9
	s_mul_hi_u32 s9, s15, s8
	s_mul_i32 s10, s12, s8
	s_add_i32 s1, s9, s1
	s_mul_i32 s0, s15, s8
	s_add_i32 s1, s1, s10
	s_mul_i32 s10, s5, s15
	s_lshl_b64 s[0:1], s[0:1], 3
	s_mul_i32 s8, s4, s12
	s_mul_hi_u32 s9, s4, s15
	s_waitcnt lgkmcnt(0)
	s_ashr_i32 s5, s22, 31
	s_add_u32 s26, s6, s0
	s_addc_u32 s27, s7, s1
	s_lshl_b32 s28, s18, 3
	s_add_i32 s6, s18, -2
	s_sub_i32 s17, s17, s18
	s_add_i32 s29, s28, 0
	s_cmpk_lg_i32 s16, 0xb5
	s_mul_i32 s0, s4, s15
	s_cselect_b32 s16, -1, 0
	s_add_i32 s1, s9, s8
	s_mov_b32 s4, s22
	s_add_i32 s1, s1, s10
	s_lshl_b64 s[4:5], s[4:5], 3
	s_lshl_b64 s[0:1], s[0:1], 3
	s_mov_b32 s7, 0
	s_add_u32 s8, s0, s4
	s_addc_u32 s9, s1, s5
	s_lshl_b64 s[0:1], s[6:7], 3
	s_mov_b32 s4, s23
	s_add_u32 s5, s20, s0
	s_addc_u32 s10, s21, s1
	s_add_u32 s11, s5, s8
	s_addc_u32 s10, s10, s9
	s_ashr_i32 s5, s23, 31
	s_lshl_b32 s22, s19, 3
	s_lshl_b64 s[4:5], s[4:5], 3
	s_add_u32 s8, s8, s20
	s_addc_u32 s9, s9, s21
	s_add_u32 s20, s8, 4
	s_addc_u32 s21, s9, 0
	v_add_co_u32 v1, s11, s11, v7
	s_add_u32 s30, s20, s0
	s_addc_u32 s31, s21, s1
	s_add_i32 s0, s28, 8
	v_add_co_ci_u32_e64 v2, null, s10, 0, s11
	s_mul_i32 s0, s18, s0
	v_mul_lo_u32 v8, v0, s23
	v_add_co_u32 v1, vcc_lo, v1, 8
	s_add_i32 s0, s0, 0
	v_add_co_ci_u32_e32 v2, vcc_lo, 0, v2, vcc_lo
	v_add3_u32 v9, s0, v7, -8
	s_add_i32 s1, s18, -1
	s_mul_i32 s8, s23, s6
	s_mul_i32 s10, s23, s1
	;; [unrolled: 1-line block ×3, first 2 shown]
	s_xor_b32 s34, s28, -8
	s_branch .LBB52_8
.LBB52_7:                               ;   in Loop: Header=BB52_8 Depth=1
	s_set_inst_prefetch_distance 0x2
	s_or_b32 exec_lo, exec_lo, s0
	v_add_co_u32 v1, vcc_lo, v1, -8
	s_add_i32 s0, s6, -1
	v_add_co_ci_u32_e32 v2, vcc_lo, -1, v2, vcc_lo
	v_add_nc_u32_e32 v9, s34, v9
	s_add_u32 s30, s30, -8
	s_addc_u32 s31, s31, -1
	s_sub_i32 s8, s8, s23
	s_sub_i32 s10, s10, s23
	s_cmp_lt_i32 s6, 1
	s_mov_b32 s6, s0
	s_waitcnt lgkmcnt(0)
	s_barrier
	buffer_gl0_inv
	s_cbranch_scc1 .LBB52_29
.LBB52_8:                               ; =>This Loop Header: Depth=1
                                        ;     Child Loop BB52_12 Depth 2
                                        ;       Child Loop BB52_14 Depth 3
                                        ;     Child Loop BB52_20 Depth 2
                                        ;       Child Loop BB52_22 Depth 3
	;; [unrolled: 2-line block ×3, first 2 shown]
	s_not_b32 s35, s6
	s_lshl_b32 s0, s6, 3
	s_mul_i32 s1, s6, s18
	s_add_i32 s35, s35, s18
	s_add_i32 s36, s29, s0
	s_lshl_b32 s0, s1, 3
	s_add_i32 s37, s6, s17
	s_add_i32 s36, s36, s0
	v_cmp_gt_i32_e64 s0, s35, v0
	s_and_b32 vcc_lo, exec_lo, s16
	s_mov_b32 s1, -1
	s_cbranch_vccz .LBB52_16
; %bb.9:                                ;   in Loop: Header=BB52_8 Depth=1
	s_delay_alu instid0(VALU_DEP_1)
	s_and_saveexec_b32 s9, s0
	s_cbranch_execz .LBB52_15
; %bb.10:                               ;   in Loop: Header=BB52_8 Depth=1
	s_cmp_gt_i32 s37, 0
	v_dual_mov_b32 v4, v2 :: v_dual_mov_b32 v3, v1
	s_cselect_b32 s11, -1, 0
	s_lshl_b64 s[0:1], s[6:7], 3
	v_mov_b32_e32 v5, v0
	s_add_u32 s0, s26, s0
	s_addc_u32 s1, s27, s1
	s_mov_b32 s14, 0
	s_load_b64 s[12:13], s[0:1], 0x0
	s_add_i32 s15, s36, 8
	s_branch .LBB52_12
.LBB52_11:                              ;   in Loop: Header=BB52_12 Depth=2
	s_waitcnt lgkmcnt(0)
	s_delay_alu instid0(VALU_DEP_1) | instskip(SKIP_2) | instid1(VALU_DEP_3)
	v_dual_mul_f32 v15, s13, v10 :: v_dual_lshlrev_b32 v14, 3, v5
	v_dual_mul_f32 v16, s13, v11 :: v_dual_add_nc_u32 v5, s19, v5
	v_add_co_u32 v3, s0, v3, s22
	v_fma_f32 v11, v11, s12, -v15
	s_delay_alu instid0(VALU_DEP_3)
	v_fmac_f32_e32 v16, s12, v10
	v_add_nc_u32_e32 v12, s15, v14
	v_cmp_le_i32_e32 vcc_lo, s35, v5
	v_add_nc_u32_e32 v14, 0, v14
	v_add_co_ci_u32_e64 v4, s0, 0, v4, s0
	ds_load_b64 v[12:13], v12
	s_or_b32 s14, vcc_lo, s14
	s_waitcnt lgkmcnt(0)
	v_dual_add_f32 v10, v12, v11 :: v_dual_add_f32 v11, v13, v16
	ds_store_b64 v14, v[10:11]
	s_and_not1_b32 exec_lo, exec_lo, s14
	s_cbranch_execz .LBB52_15
.LBB52_12:                              ;   Parent Loop BB52_8 Depth=1
                                        ; =>  This Loop Header: Depth=2
                                        ;       Child Loop BB52_14 Depth 3
	v_dual_mov_b32 v10, 0 :: v_dual_mov_b32 v11, 0
	s_and_not1_b32 vcc_lo, exec_lo, s11
	s_cbranch_vccnz .LBB52_11
; %bb.13:                               ;   in Loop: Header=BB52_12 Depth=2
	v_dual_mov_b32 v10, 0 :: v_dual_mov_b32 v11, 0
	s_mov_b32 s38, 0
	s_mov_b64 s[0:1], 0
	.p2align	6
.LBB52_14:                              ;   Parent Loop BB52_8 Depth=1
                                        ;     Parent Loop BB52_12 Depth=2
                                        ; =>    This Inner Loop Header: Depth=3
	s_delay_alu instid0(SALU_CYCLE_1)
	v_add_co_u32 v12, vcc_lo, v3, s0
	v_add_co_ci_u32_e32 v13, vcc_lo, s1, v4, vcc_lo
	s_add_u32 s39, s30, s0
	s_addc_u32 s41, s31, s1
	s_add_u32 s40, s39, -4
	global_load_b64 v[12:13], v[12:13], off
	s_addc_u32 s41, s41, -1
	s_add_i32 s38, s38, 1
	s_load_b64 s[40:41], s[40:41], 0x0
	s_add_u32 s0, s0, s4
	s_addc_u32 s1, s1, s5
	s_cmp_ge_i32 s38, s37
	s_waitcnt vmcnt(0) lgkmcnt(0)
	v_dual_mul_f32 v14, s41, v13 :: v_dual_mul_f32 v15, s41, v12
	s_delay_alu instid0(VALU_DEP_1) | instskip(NEXT) | instid1(VALU_DEP_2)
	v_fmac_f32_e32 v14, s40, v12
	v_fma_f32 v12, s40, v13, -v15
	s_delay_alu instid0(VALU_DEP_1)
	v_dual_add_f32 v11, v11, v14 :: v_dual_add_f32 v10, v10, v12
	s_cbranch_scc0 .LBB52_14
	s_branch .LBB52_11
.LBB52_15:                              ;   in Loop: Header=BB52_8 Depth=1
	s_or_b32 exec_lo, exec_lo, s9
	s_mov_b32 s1, 0
.LBB52_16:                              ;   in Loop: Header=BB52_8 Depth=1
	s_delay_alu instid0(SALU_CYCLE_1)
	s_and_not1_b32 vcc_lo, exec_lo, s1
	s_cbranch_vccnz .LBB52_24
; %bb.17:                               ;   in Loop: Header=BB52_8 Depth=1
	s_mov_b32 s38, exec_lo
	v_cmpx_gt_i32_e64 s35, v0
	s_cbranch_execz .LBB52_23
; %bb.18:                               ;   in Loop: Header=BB52_8 Depth=1
	s_ashr_i32 s9, s8, 31
	v_mov_b32_e32 v3, v8
	s_lshl_b64 s[0:1], s[8:9], 3
	v_mov_b32_e32 v10, v0
	s_add_u32 s0, s20, s0
	s_addc_u32 s1, s21, s1
	s_ashr_i32 s11, s10, 31
	s_delay_alu instid0(SALU_CYCLE_1) | instskip(SKIP_4) | instid1(SALU_CYCLE_1)
	s_lshl_b64 s[14:15], s[10:11], 3
	s_cmp_gt_i32 s37, 0
	s_mov_b32 s11, 0
	s_cselect_b32 s9, -1, 0
	s_lshl_b64 s[12:13], s[6:7], 3
	s_add_u32 s12, s26, s12
	s_addc_u32 s13, s27, s13
	s_add_i32 s39, s36, 8
	s_load_b64 s[12:13], s[12:13], 0x0
	s_add_u32 s40, s20, s14
	s_addc_u32 s41, s21, s15
	s_branch .LBB52_20
.LBB52_19:                              ;   in Loop: Header=BB52_20 Depth=2
	s_waitcnt lgkmcnt(0)
	s_delay_alu instid0(VALU_DEP_1) | instskip(SKIP_2) | instid1(VALU_DEP_3)
	v_dual_mul_f32 v14, s13, v11 :: v_dual_lshlrev_b32 v13, 3, v10
	v_add_nc_u32_e32 v3, s33, v3
	v_dual_mul_f32 v15, s13, v12 :: v_dual_add_nc_u32 v10, s19, v10
	v_add_nc_u32_e32 v4, s39, v13
	s_delay_alu instid0(VALU_DEP_4) | instskip(NEXT) | instid1(VALU_DEP_3)
	v_fma_f32 v12, v12, s12, -v14
	v_fmac_f32_e32 v15, s12, v11
	s_delay_alu instid0(VALU_DEP_4)
	v_cmp_le_i32_e32 vcc_lo, s35, v10
	ds_load_b64 v[4:5], v4
	v_add_nc_u32_e32 v11, 0, v13
	s_or_b32 s11, vcc_lo, s11
	s_waitcnt lgkmcnt(0)
	v_dual_add_f32 v4, v4, v12 :: v_dual_add_f32 v5, v5, v15
	ds_store_b64 v11, v[4:5]
	s_and_not1_b32 exec_lo, exec_lo, s11
	s_cbranch_execz .LBB52_23
.LBB52_20:                              ;   Parent Loop BB52_8 Depth=1
                                        ; =>  This Loop Header: Depth=2
                                        ;       Child Loop BB52_22 Depth 3
	v_dual_mov_b32 v11, 0 :: v_dual_mov_b32 v12, 0
	s_and_not1_b32 vcc_lo, exec_lo, s9
	s_cbranch_vccnz .LBB52_19
; %bb.21:                               ;   in Loop: Header=BB52_20 Depth=2
	v_ashrrev_i32_e32 v4, 31, v3
	v_dual_mov_b32 v11, 0 :: v_dual_mov_b32 v12, 0
	s_mov_b32 s42, 0
	s_mov_b64 s[14:15], s[0:1]
	s_delay_alu instid0(VALU_DEP_2) | instskip(NEXT) | instid1(VALU_DEP_1)
	v_lshlrev_b64 v[4:5], 3, v[3:4]
	v_add_co_u32 v4, vcc_lo, s40, v4
	s_delay_alu instid0(VALU_DEP_2)
	v_add_co_ci_u32_e32 v5, vcc_lo, s41, v5, vcc_lo
	.p2align	6
.LBB52_22:                              ;   Parent Loop BB52_8 Depth=1
                                        ;     Parent Loop BB52_20 Depth=2
                                        ; =>    This Inner Loop Header: Depth=3
	global_load_b64 v[13:14], v[4:5], off offset:-4
	s_add_u32 s44, s14, -4
	s_addc_u32 s45, s15, -1
	v_add_co_u32 v4, vcc_lo, v4, 8
	s_load_b64 s[44:45], s[44:45], 0x0
	v_add_co_ci_u32_e32 v5, vcc_lo, 0, v5, vcc_lo
	s_add_i32 s42, s42, 1
	s_add_u32 s14, s14, 8
	s_addc_u32 s15, s15, 0
	s_cmp_ge_i32 s42, s37
	s_waitcnt vmcnt(0) lgkmcnt(0)
	v_mul_f32_e32 v15, s45, v14
	s_delay_alu instid0(VALU_DEP_1) | instskip(NEXT) | instid1(VALU_DEP_1)
	v_dual_mul_f32 v14, s44, v14 :: v_dual_fmac_f32 v15, s44, v13
	v_fma_f32 v13, v13, s45, -v14
	s_delay_alu instid0(VALU_DEP_1)
	v_dual_add_f32 v12, v12, v15 :: v_dual_add_f32 v11, v11, v13
	s_cbranch_scc0 .LBB52_22
	s_branch .LBB52_19
.LBB52_23:                              ;   in Loop: Header=BB52_8 Depth=1
	s_or_b32 exec_lo, exec_lo, s38
.LBB52_24:                              ;   in Loop: Header=BB52_8 Depth=1
	s_delay_alu instid0(SALU_CYCLE_1)
	s_mov_b32 s0, exec_lo
	s_waitcnt lgkmcnt(0)
	s_barrier
	buffer_gl0_inv
	v_cmpx_gt_i32_e64 s35, v0
	s_cbranch_execz .LBB52_7
; %bb.25:                               ;   in Loop: Header=BB52_8 Depth=1
	v_dual_mov_b32 v5, v9 :: v_dual_mov_b32 v10, v0
	s_add_i32 s36, s36, 8
	s_mov_b32 s1, 0
	s_set_inst_prefetch_distance 0x1
	.p2align	6
.LBB52_26:                              ;   Parent Loop BB52_8 Depth=1
                                        ; =>  This Loop Header: Depth=2
                                        ;       Child Loop BB52_27 Depth 3
	v_dual_mov_b32 v3, 0 :: v_dual_mov_b32 v4, 0
	v_mov_b32_e32 v11, v5
	s_mov_b32 s11, -1
	s_mov_b32 s9, 0
	s_mov_b32 s12, 0
	.p2align	6
.LBB52_27:                              ;   Parent Loop BB52_8 Depth=1
                                        ;     Parent Loop BB52_26 Depth=2
                                        ; =>    This Inner Loop Header: Depth=3
	s_delay_alu instid0(SALU_CYCLE_1)
	v_mov_b32_e32 v14, s12
	s_add_i32 s11, s11, 1
	s_add_i32 s12, s12, 8
	v_cmp_eq_u32_e32 vcc_lo, s11, v10
	ds_load_b64 v[12:13], v11
	ds_load_b64 v[14:15], v14
	v_add_nc_u32_e32 v11, s28, v11
	s_or_b32 s9, vcc_lo, s9
	s_waitcnt lgkmcnt(0)
	v_mul_f32_e32 v16, v15, v13
	v_mul_f32_e32 v13, v14, v13
	s_delay_alu instid0(VALU_DEP_2) | instskip(NEXT) | instid1(VALU_DEP_2)
	v_fma_f32 v14, v14, v12, -v16
	v_fmac_f32_e32 v13, v15, v12
	s_delay_alu instid0(VALU_DEP_1)
	v_dual_add_f32 v3, v3, v14 :: v_dual_add_f32 v4, v4, v13
	s_and_not1_b32 exec_lo, exec_lo, s9
	s_cbranch_execnz .LBB52_27
; %bb.28:                               ;   in Loop: Header=BB52_26 Depth=2
	s_or_b32 exec_lo, exec_lo, s9
	v_lshl_add_u32 v11, v10, 3, s36
	v_add_nc_u32_e32 v10, s19, v10
	v_add_nc_u32_e32 v5, s22, v5
	ds_store_b64 v11, v[3:4]
	v_cmp_le_i32_e32 vcc_lo, s35, v10
	s_or_b32 s1, vcc_lo, s1
	s_delay_alu instid0(SALU_CYCLE_1)
	s_and_not1_b32 exec_lo, exec_lo, s1
	s_cbranch_execnz .LBB52_26
	s_branch .LBB52_7
.LBB52_29:
	s_and_saveexec_b32 s0, s2
	s_cbranch_execz .LBB52_34
; %bb.30:
	s_lshl_b32 s1, s18, 3
	s_mov_b32 s2, 0
	v_add3_u32 v3, 0, s1, v7
	s_lshl_b32 s4, s19, 3
	.p2align	6
.LBB52_31:                              ; =>This Loop Header: Depth=1
                                        ;     Child Loop BB52_32 Depth 2
	s_delay_alu instid0(VALU_DEP_1)
	v_dual_mov_b32 v4, v3 :: v_dual_mov_b32 v1, v0
	s_mov_b32 s5, 0
	s_mov_b32 s6, 0
	.p2align	6
.LBB52_32:                              ;   Parent Loop BB52_31 Depth=1
                                        ; =>  This Inner Loop Header: Depth=2
	ds_load_b64 v[7:8], v4
	v_ashrrev_i32_e32 v2, 31, v1
	s_add_i32 s6, s6, 1
	v_add_nc_u32_e32 v4, s1, v4
	v_cmp_eq_u32_e32 vcc_lo, s6, v6
	s_delay_alu instid0(VALU_DEP_3) | instskip(SKIP_2) | instid1(VALU_DEP_2)
	v_lshlrev_b64 v[9:10], 3, v[1:2]
	v_add_nc_u32_e32 v1, s3, v1
	s_or_b32 s5, vcc_lo, s5
	v_add_co_u32 v9, s0, s24, v9
	s_delay_alu instid0(VALU_DEP_1)
	v_add_co_ci_u32_e64 v10, s0, s25, v10, s0
	s_waitcnt lgkmcnt(0)
	global_store_b64 v[9:10], v[7:8], off
	s_and_not1_b32 exec_lo, exec_lo, s5
	s_cbranch_execnz .LBB52_32
; %bb.33:                               ;   in Loop: Header=BB52_31 Depth=1
	s_or_b32 exec_lo, exec_lo, s5
	v_add_nc_u32_e32 v0, s19, v0
	v_add_nc_u32_e32 v6, s19, v6
	;; [unrolled: 1-line block ×3, first 2 shown]
	s_delay_alu instid0(VALU_DEP_3) | instskip(SKIP_1) | instid1(SALU_CYCLE_1)
	v_cmp_le_i32_e32 vcc_lo, s18, v0
	s_or_b32 s2, vcc_lo, s2
	s_and_not1_b32 exec_lo, exec_lo, s2
	s_cbranch_execnz .LBB52_31
.LBB52_34:
	s_nop 0
	s_sendmsg sendmsg(MSG_DEALLOC_VGPRS)
	s_endpgm
	.section	.rodata,"a",@progbits
	.p2align	6, 0x0
	.amdhsa_kernel _ZN9rocsolver6v33100L21larft_kernel_backwardI19rocblas_complex_numIfEPS3_EEv15rocblas_storev_iiT0_iilPT_lS8_il
		.amdhsa_group_segment_fixed_size 0
		.amdhsa_private_segment_fixed_size 0
		.amdhsa_kernarg_size 336
		.amdhsa_user_sgpr_count 14
		.amdhsa_user_sgpr_dispatch_ptr 0
		.amdhsa_user_sgpr_queue_ptr 0
		.amdhsa_user_sgpr_kernarg_segment_ptr 1
		.amdhsa_user_sgpr_dispatch_id 0
		.amdhsa_user_sgpr_private_segment_size 0
		.amdhsa_wavefront_size32 1
		.amdhsa_uses_dynamic_stack 0
		.amdhsa_enable_private_segment 0
		.amdhsa_system_sgpr_workgroup_id_x 1
		.amdhsa_system_sgpr_workgroup_id_y 1
		.amdhsa_system_sgpr_workgroup_id_z 0
		.amdhsa_system_sgpr_workgroup_info 0
		.amdhsa_system_vgpr_workitem_id 0
		.amdhsa_next_free_vgpr 17
		.amdhsa_next_free_sgpr 46
		.amdhsa_reserve_vcc 1
		.amdhsa_float_round_mode_32 0
		.amdhsa_float_round_mode_16_64 0
		.amdhsa_float_denorm_mode_32 3
		.amdhsa_float_denorm_mode_16_64 3
		.amdhsa_dx10_clamp 1
		.amdhsa_ieee_mode 1
		.amdhsa_fp16_overflow 0
		.amdhsa_workgroup_processor_mode 1
		.amdhsa_memory_ordered 1
		.amdhsa_forward_progress 0
		.amdhsa_shared_vgpr_count 0
		.amdhsa_exception_fp_ieee_invalid_op 0
		.amdhsa_exception_fp_denorm_src 0
		.amdhsa_exception_fp_ieee_div_zero 0
		.amdhsa_exception_fp_ieee_overflow 0
		.amdhsa_exception_fp_ieee_underflow 0
		.amdhsa_exception_fp_ieee_inexact 0
		.amdhsa_exception_int_div_zero 0
	.end_amdhsa_kernel
	.section	.text._ZN9rocsolver6v33100L21larft_kernel_backwardI19rocblas_complex_numIfEPS3_EEv15rocblas_storev_iiT0_iilPT_lS8_il,"axG",@progbits,_ZN9rocsolver6v33100L21larft_kernel_backwardI19rocblas_complex_numIfEPS3_EEv15rocblas_storev_iiT0_iilPT_lS8_il,comdat
.Lfunc_end52:
	.size	_ZN9rocsolver6v33100L21larft_kernel_backwardI19rocblas_complex_numIfEPS3_EEv15rocblas_storev_iiT0_iilPT_lS8_il, .Lfunc_end52-_ZN9rocsolver6v33100L21larft_kernel_backwardI19rocblas_complex_numIfEPS3_EEv15rocblas_storev_iiT0_iilPT_lS8_il
                                        ; -- End function
	.section	.AMDGPU.csdata,"",@progbits
; Kernel info:
; codeLenInByte = 1808
; NumSgprs: 48
; NumVgprs: 17
; ScratchSize: 0
; MemoryBound: 0
; FloatMode: 240
; IeeeMode: 1
; LDSByteSize: 0 bytes/workgroup (compile time only)
; SGPRBlocks: 5
; VGPRBlocks: 2
; NumSGPRsForWavesPerEU: 48
; NumVGPRsForWavesPerEU: 17
; Occupancy: 16
; WaveLimiterHint : 0
; COMPUTE_PGM_RSRC2:SCRATCH_EN: 0
; COMPUTE_PGM_RSRC2:USER_SGPR: 14
; COMPUTE_PGM_RSRC2:TRAP_HANDLER: 0
; COMPUTE_PGM_RSRC2:TGID_X_EN: 1
; COMPUTE_PGM_RSRC2:TGID_Y_EN: 1
; COMPUTE_PGM_RSRC2:TGID_Z_EN: 0
; COMPUTE_PGM_RSRC2:TIDIG_COMP_CNT: 0
	.section	.text._ZN9rocsolver6v33100L9copymatA1I19rocblas_complex_numIfEPS3_EEviiT0_iilPT_,"axG",@progbits,_ZN9rocsolver6v33100L9copymatA1I19rocblas_complex_numIfEPS3_EEviiT0_iilPT_,comdat
	.globl	_ZN9rocsolver6v33100L9copymatA1I19rocblas_complex_numIfEPS3_EEviiT0_iilPT_ ; -- Begin function _ZN9rocsolver6v33100L9copymatA1I19rocblas_complex_numIfEPS3_EEviiT0_iilPT_
	.p2align	8
	.type	_ZN9rocsolver6v33100L9copymatA1I19rocblas_complex_numIfEPS3_EEviiT0_iilPT_,@function
_ZN9rocsolver6v33100L9copymatA1I19rocblas_complex_numIfEPS3_EEviiT0_iilPT_: ; @_ZN9rocsolver6v33100L9copymatA1I19rocblas_complex_numIfEPS3_EEviiT0_iilPT_
; %bb.0:
	s_clause 0x1
	s_load_b32 s2, s[0:1], 0x34
	s_load_b64 s[8:9], s[0:1], 0x0
	v_bfe_u32 v2, v0, 10, 10
	v_and_b32_e32 v3, 0x3ff, v0
	s_waitcnt lgkmcnt(0)
	s_lshr_b32 s3, s2, 16
	s_and_b32 s2, s2, 0xffff
	s_delay_alu instid0(VALU_DEP_1) | instskip(SKIP_1) | instid1(VALU_DEP_2)
	v_mad_u64_u32 v[0:1], null, s14, s3, v[2:3]
	v_mad_u64_u32 v[1:2], null, s13, s2, v[3:4]
	v_cmp_gt_u32_e32 vcc_lo, s8, v0
	s_delay_alu instid0(VALU_DEP_2) | instskip(NEXT) | instid1(VALU_DEP_1)
	v_cmp_gt_u32_e64 s2, s9, v1
	s_and_b32 s2, s2, vcc_lo
	s_delay_alu instid0(SALU_CYCLE_1)
	s_and_saveexec_b32 s3, s2
	s_cbranch_execz .LBB53_2
; %bb.1:
	s_load_b256 s[0:7], s[0:1], 0x8
	s_ashr_i32 s10, s8, 31
	s_ashr_i32 s11, s9, 31
	s_mul_hi_u32 s12, s8, s15
	s_mul_i32 s13, s8, s15
	s_mul_i32 s10, s10, s15
	;; [unrolled: 1-line block ×3, first 2 shown]
	s_mul_hi_u32 s14, s13, s9
	s_add_i32 s10, s12, s10
	s_add_i32 s11, s14, s11
	s_mul_i32 s12, s10, s9
	s_mul_i32 s10, s13, s9
	s_add_i32 s11, s11, s12
	v_mad_u64_u32 v[6:7], null, v1, s8, v[0:1]
	s_lshl_b64 s[10:11], s[10:11], 3
	s_waitcnt lgkmcnt(0)
	v_mad_u64_u32 v[2:3], null, v1, s3, v[0:1]
	s_add_u32 s9, s6, s10
	s_mul_i32 s5, s15, s5
	s_mul_hi_u32 s10, s15, s4
	v_mov_b32_e32 v3, 0
	s_mul_i32 s4, s15, s4
	s_addc_u32 s3, s7, s11
	s_add_i32 s5, s10, s5
	s_mov_b32 s6, s2
	s_lshl_b64 s[4:5], s[4:5], 3
	s_ashr_i32 s7, s2, 31
	v_lshlrev_b64 v[4:5], 3, v[2:3]
	s_add_u32 s2, s0, s4
	s_addc_u32 s4, s1, s5
	s_lshl_b64 s[0:1], s[6:7], 3
	v_mov_b32_e32 v7, v3
	s_add_u32 s0, s2, s0
	s_addc_u32 s1, s4, s1
	v_add_co_u32 v4, vcc_lo, s0, v4
	v_add_co_ci_u32_e32 v5, vcc_lo, s1, v5, vcc_lo
	v_lshlrev_b64 v[0:1], 3, v[6:7]
	global_load_b64 v[4:5], v[4:5], off
	v_add_co_u32 v0, vcc_lo, s9, v0
	v_add_co_ci_u32_e32 v1, vcc_lo, s3, v1, vcc_lo
	s_waitcnt vmcnt(0)
	global_store_b64 v[0:1], v[4:5], off
.LBB53_2:
	s_nop 0
	s_sendmsg sendmsg(MSG_DEALLOC_VGPRS)
	s_endpgm
	.section	.rodata,"a",@progbits
	.p2align	6, 0x0
	.amdhsa_kernel _ZN9rocsolver6v33100L9copymatA1I19rocblas_complex_numIfEPS3_EEviiT0_iilPT_
		.amdhsa_group_segment_fixed_size 0
		.amdhsa_private_segment_fixed_size 0
		.amdhsa_kernarg_size 296
		.amdhsa_user_sgpr_count 13
		.amdhsa_user_sgpr_dispatch_ptr 0
		.amdhsa_user_sgpr_queue_ptr 0
		.amdhsa_user_sgpr_kernarg_segment_ptr 1
		.amdhsa_user_sgpr_dispatch_id 0
		.amdhsa_user_sgpr_private_segment_size 0
		.amdhsa_wavefront_size32 1
		.amdhsa_uses_dynamic_stack 0
		.amdhsa_enable_private_segment 0
		.amdhsa_system_sgpr_workgroup_id_x 1
		.amdhsa_system_sgpr_workgroup_id_y 1
		.amdhsa_system_sgpr_workgroup_id_z 1
		.amdhsa_system_sgpr_workgroup_info 0
		.amdhsa_system_vgpr_workitem_id 1
		.amdhsa_next_free_vgpr 8
		.amdhsa_next_free_sgpr 16
		.amdhsa_reserve_vcc 1
		.amdhsa_float_round_mode_32 0
		.amdhsa_float_round_mode_16_64 0
		.amdhsa_float_denorm_mode_32 3
		.amdhsa_float_denorm_mode_16_64 3
		.amdhsa_dx10_clamp 1
		.amdhsa_ieee_mode 1
		.amdhsa_fp16_overflow 0
		.amdhsa_workgroup_processor_mode 1
		.amdhsa_memory_ordered 1
		.amdhsa_forward_progress 0
		.amdhsa_shared_vgpr_count 0
		.amdhsa_exception_fp_ieee_invalid_op 0
		.amdhsa_exception_fp_denorm_src 0
		.amdhsa_exception_fp_ieee_div_zero 0
		.amdhsa_exception_fp_ieee_overflow 0
		.amdhsa_exception_fp_ieee_underflow 0
		.amdhsa_exception_fp_ieee_inexact 0
		.amdhsa_exception_int_div_zero 0
	.end_amdhsa_kernel
	.section	.text._ZN9rocsolver6v33100L9copymatA1I19rocblas_complex_numIfEPS3_EEviiT0_iilPT_,"axG",@progbits,_ZN9rocsolver6v33100L9copymatA1I19rocblas_complex_numIfEPS3_EEviiT0_iilPT_,comdat
.Lfunc_end53:
	.size	_ZN9rocsolver6v33100L9copymatA1I19rocblas_complex_numIfEPS3_EEviiT0_iilPT_, .Lfunc_end53-_ZN9rocsolver6v33100L9copymatA1I19rocblas_complex_numIfEPS3_EEviiT0_iilPT_
                                        ; -- End function
	.section	.AMDGPU.csdata,"",@progbits
; Kernel info:
; codeLenInByte = 320
; NumSgprs: 18
; NumVgprs: 8
; ScratchSize: 0
; MemoryBound: 0
; FloatMode: 240
; IeeeMode: 1
; LDSByteSize: 0 bytes/workgroup (compile time only)
; SGPRBlocks: 2
; VGPRBlocks: 0
; NumSGPRsForWavesPerEU: 18
; NumVGPRsForWavesPerEU: 8
; Occupancy: 16
; WaveLimiterHint : 0
; COMPUTE_PGM_RSRC2:SCRATCH_EN: 0
; COMPUTE_PGM_RSRC2:USER_SGPR: 13
; COMPUTE_PGM_RSRC2:TRAP_HANDLER: 0
; COMPUTE_PGM_RSRC2:TGID_X_EN: 1
; COMPUTE_PGM_RSRC2:TGID_Y_EN: 1
; COMPUTE_PGM_RSRC2:TGID_Z_EN: 1
; COMPUTE_PGM_RSRC2:TIDIG_COMP_CNT: 1
	.section	.text._ZN9rocsolver6v33100L8addmatA1I19rocblas_complex_numIfEPS3_EEviiT0_iilPT_,"axG",@progbits,_ZN9rocsolver6v33100L8addmatA1I19rocblas_complex_numIfEPS3_EEviiT0_iilPT_,comdat
	.globl	_ZN9rocsolver6v33100L8addmatA1I19rocblas_complex_numIfEPS3_EEviiT0_iilPT_ ; -- Begin function _ZN9rocsolver6v33100L8addmatA1I19rocblas_complex_numIfEPS3_EEviiT0_iilPT_
	.p2align	8
	.type	_ZN9rocsolver6v33100L8addmatA1I19rocblas_complex_numIfEPS3_EEviiT0_iilPT_,@function
_ZN9rocsolver6v33100L8addmatA1I19rocblas_complex_numIfEPS3_EEviiT0_iilPT_: ; @_ZN9rocsolver6v33100L8addmatA1I19rocblas_complex_numIfEPS3_EEviiT0_iilPT_
; %bb.0:
	s_clause 0x1
	s_load_b32 s2, s[0:1], 0x34
	s_load_b64 s[8:9], s[0:1], 0x0
	v_bfe_u32 v2, v0, 10, 10
	v_and_b32_e32 v3, 0x3ff, v0
	s_waitcnt lgkmcnt(0)
	s_lshr_b32 s3, s2, 16
	s_and_b32 s2, s2, 0xffff
	s_delay_alu instid0(VALU_DEP_1) | instskip(SKIP_1) | instid1(VALU_DEP_2)
	v_mad_u64_u32 v[0:1], null, s14, s3, v[2:3]
	v_mad_u64_u32 v[1:2], null, s13, s2, v[3:4]
	v_cmp_gt_u32_e32 vcc_lo, s8, v0
	s_delay_alu instid0(VALU_DEP_2) | instskip(NEXT) | instid1(VALU_DEP_1)
	v_cmp_gt_u32_e64 s2, s9, v1
	s_and_b32 s2, s2, vcc_lo
	s_delay_alu instid0(SALU_CYCLE_1)
	s_and_saveexec_b32 s3, s2
	s_cbranch_execz .LBB54_2
; %bb.1:
	s_load_b256 s[0:7], s[0:1], 0x8
	s_ashr_i32 s10, s8, 31
	s_ashr_i32 s11, s9, 31
	s_mul_hi_u32 s12, s8, s15
	s_mul_i32 s13, s8, s15
	s_mul_i32 s10, s10, s15
	;; [unrolled: 1-line block ×3, first 2 shown]
	s_mul_hi_u32 s14, s13, s9
	s_add_i32 s10, s12, s10
	s_add_i32 s11, s14, s11
	s_mul_i32 s12, s10, s9
	v_mad_u64_u32 v[2:3], null, v1, s8, v[0:1]
	v_mov_b32_e32 v3, 0
	s_mul_i32 s10, s13, s9
	s_add_i32 s11, s11, s12
	s_delay_alu instid0(SALU_CYCLE_1)
	s_lshl_b64 s[8:9], s[10:11], 3
	s_waitcnt lgkmcnt(0)
	v_mad_u64_u32 v[4:5], null, v1, s3, v[0:1]
	s_add_u32 s8, s6, s8
	s_mul_i32 s5, s15, s5
	s_mul_hi_u32 s6, s15, s4
	v_mov_b32_e32 v5, v3
	s_mul_i32 s4, s15, s4
	s_addc_u32 s9, s7, s9
	s_add_i32 s5, s6, s5
	v_lshlrev_b64 v[0:1], 3, v[2:3]
	s_lshl_b64 s[4:5], s[4:5], 3
	s_mov_b32 s6, s2
	s_ashr_i32 s7, s2, 31
	v_lshlrev_b64 v[2:3], 3, v[4:5]
	s_add_u32 s2, s0, s4
	s_addc_u32 s3, s1, s5
	s_lshl_b64 s[0:1], s[6:7], 3
	v_add_co_u32 v0, vcc_lo, s8, v0
	s_add_u32 s0, s2, s0
	v_add_co_ci_u32_e32 v1, vcc_lo, s9, v1, vcc_lo
	s_addc_u32 s1, s3, s1
	v_add_co_u32 v2, vcc_lo, s0, v2
	v_add_co_ci_u32_e32 v3, vcc_lo, s1, v3, vcc_lo
	global_load_b64 v[0:1], v[0:1], off
	global_load_b64 v[4:5], v[2:3], off
	s_waitcnt vmcnt(0)
	v_dual_sub_f32 v0, v4, v0 :: v_dual_sub_f32 v1, v5, v1
	global_store_b64 v[2:3], v[0:1], off
.LBB54_2:
	s_nop 0
	s_sendmsg sendmsg(MSG_DEALLOC_VGPRS)
	s_endpgm
	.section	.rodata,"a",@progbits
	.p2align	6, 0x0
	.amdhsa_kernel _ZN9rocsolver6v33100L8addmatA1I19rocblas_complex_numIfEPS3_EEviiT0_iilPT_
		.amdhsa_group_segment_fixed_size 0
		.amdhsa_private_segment_fixed_size 0
		.amdhsa_kernarg_size 296
		.amdhsa_user_sgpr_count 13
		.amdhsa_user_sgpr_dispatch_ptr 0
		.amdhsa_user_sgpr_queue_ptr 0
		.amdhsa_user_sgpr_kernarg_segment_ptr 1
		.amdhsa_user_sgpr_dispatch_id 0
		.amdhsa_user_sgpr_private_segment_size 0
		.amdhsa_wavefront_size32 1
		.amdhsa_uses_dynamic_stack 0
		.amdhsa_enable_private_segment 0
		.amdhsa_system_sgpr_workgroup_id_x 1
		.amdhsa_system_sgpr_workgroup_id_y 1
		.amdhsa_system_sgpr_workgroup_id_z 1
		.amdhsa_system_sgpr_workgroup_info 0
		.amdhsa_system_vgpr_workitem_id 1
		.amdhsa_next_free_vgpr 6
		.amdhsa_next_free_sgpr 16
		.amdhsa_reserve_vcc 1
		.amdhsa_float_round_mode_32 0
		.amdhsa_float_round_mode_16_64 0
		.amdhsa_float_denorm_mode_32 3
		.amdhsa_float_denorm_mode_16_64 3
		.amdhsa_dx10_clamp 1
		.amdhsa_ieee_mode 1
		.amdhsa_fp16_overflow 0
		.amdhsa_workgroup_processor_mode 1
		.amdhsa_memory_ordered 1
		.amdhsa_forward_progress 0
		.amdhsa_shared_vgpr_count 0
		.amdhsa_exception_fp_ieee_invalid_op 0
		.amdhsa_exception_fp_denorm_src 0
		.amdhsa_exception_fp_ieee_div_zero 0
		.amdhsa_exception_fp_ieee_overflow 0
		.amdhsa_exception_fp_ieee_underflow 0
		.amdhsa_exception_fp_ieee_inexact 0
		.amdhsa_exception_int_div_zero 0
	.end_amdhsa_kernel
	.section	.text._ZN9rocsolver6v33100L8addmatA1I19rocblas_complex_numIfEPS3_EEviiT0_iilPT_,"axG",@progbits,_ZN9rocsolver6v33100L8addmatA1I19rocblas_complex_numIfEPS3_EEviiT0_iilPT_,comdat
.Lfunc_end54:
	.size	_ZN9rocsolver6v33100L8addmatA1I19rocblas_complex_numIfEPS3_EEviiT0_iilPT_, .Lfunc_end54-_ZN9rocsolver6v33100L8addmatA1I19rocblas_complex_numIfEPS3_EEviiT0_iilPT_
                                        ; -- End function
	.section	.AMDGPU.csdata,"",@progbits
; Kernel info:
; codeLenInByte = 340
; NumSgprs: 18
; NumVgprs: 6
; ScratchSize: 0
; MemoryBound: 0
; FloatMode: 240
; IeeeMode: 1
; LDSByteSize: 0 bytes/workgroup (compile time only)
; SGPRBlocks: 2
; VGPRBlocks: 0
; NumSGPRsForWavesPerEU: 18
; NumVGPRsForWavesPerEU: 6
; Occupancy: 16
; WaveLimiterHint : 0
; COMPUTE_PGM_RSRC2:SCRATCH_EN: 0
; COMPUTE_PGM_RSRC2:USER_SGPR: 13
; COMPUTE_PGM_RSRC2:TRAP_HANDLER: 0
; COMPUTE_PGM_RSRC2:TGID_X_EN: 1
; COMPUTE_PGM_RSRC2:TGID_Y_EN: 1
; COMPUTE_PGM_RSRC2:TGID_Z_EN: 1
; COMPUTE_PGM_RSRC2:TIDIG_COMP_CNT: 1
	.section	.text._ZN9rocsolver6v33100L8set_diagI19rocblas_complex_numIfEiS3_PS3_TnNSt9enable_ifIXoont18rocblas_is_complexIT_E18rocblas_is_complexIT1_EEiE4typeELi0EEEvPS7_llT2_lT0_lSC_b,"axG",@progbits,_ZN9rocsolver6v33100L8set_diagI19rocblas_complex_numIfEiS3_PS3_TnNSt9enable_ifIXoont18rocblas_is_complexIT_E18rocblas_is_complexIT1_EEiE4typeELi0EEEvPS7_llT2_lT0_lSC_b,comdat
	.globl	_ZN9rocsolver6v33100L8set_diagI19rocblas_complex_numIfEiS3_PS3_TnNSt9enable_ifIXoont18rocblas_is_complexIT_E18rocblas_is_complexIT1_EEiE4typeELi0EEEvPS7_llT2_lT0_lSC_b ; -- Begin function _ZN9rocsolver6v33100L8set_diagI19rocblas_complex_numIfEiS3_PS3_TnNSt9enable_ifIXoont18rocblas_is_complexIT_E18rocblas_is_complexIT1_EEiE4typeELi0EEEvPS7_llT2_lT0_lSC_b
	.p2align	8
	.type	_ZN9rocsolver6v33100L8set_diagI19rocblas_complex_numIfEiS3_PS3_TnNSt9enable_ifIXoont18rocblas_is_complexIT_E18rocblas_is_complexIT1_EEiE4typeELi0EEEvPS7_llT2_lT0_lSC_b,@function
_ZN9rocsolver6v33100L8set_diagI19rocblas_complex_numIfEiS3_PS3_TnNSt9enable_ifIXoont18rocblas_is_complexIT_E18rocblas_is_complexIT1_EEiE4typeELi0EEEvPS7_llT2_lT0_lSC_b: ; @_ZN9rocsolver6v33100L8set_diagI19rocblas_complex_numIfEiS3_PS3_TnNSt9enable_ifIXoont18rocblas_is_complexIT_E18rocblas_is_complexIT1_EEiE4typeELi0EEEvPS7_llT2_lT0_lSC_b
; %bb.0:
	s_clause 0x1
	s_load_b32 s4, s[0:1], 0x4c
	s_load_b64 s[2:3], s[0:1], 0x38
	v_bfe_u32 v2, v0, 10, 10
	s_waitcnt lgkmcnt(0)
	s_lshr_b32 s4, s4, 16
	s_delay_alu instid0(VALU_DEP_1) | instid1(SALU_CYCLE_1)
	v_mad_u64_u32 v[0:1], null, s15, s4, v[2:3]
	s_delay_alu instid0(VALU_DEP_1)
	v_cmp_gt_i32_e32 vcc_lo, s2, v0
	s_and_saveexec_b32 s2, vcc_lo
	s_cbranch_execz .LBB55_5
; %bb.1:
	s_clause 0x3
	s_load_b32 s2, s[0:1], 0x28
	s_load_b64 s[12:13], s[0:1], 0x30
	s_load_b256 s[4:11], s[0:1], 0x0
	s_load_b64 s[0:1], s[0:1], 0x20
	s_bitcmp1_b32 s3, 0
	s_cselect_b32 s15, -1, 0
	s_ashr_i32 s16, s14, 31
	s_waitcnt lgkmcnt(0)
	v_mad_u64_u32 v[1:2], null, v0, s2, v[0:1]
	s_mul_i32 s2, s14, s13
	s_mul_hi_u32 s3, s14, s12
	s_mul_i32 s13, s16, s12
	s_add_i32 s3, s3, s2
	s_mul_i32 s2, s14, s12
	s_add_i32 s3, s3, s13
	s_delay_alu instid0(VALU_DEP_1)
	v_ashrrev_i32_e32 v2, 31, v1
	s_lshl_b64 s[2:3], s[2:3], 3
	s_mul_i32 s16, s16, s8
	s_add_u32 s2, s10, s2
	s_addc_u32 s3, s11, s3
	v_lshlrev_b64 v[2:3], 3, v[1:2]
	s_lshl_b64 s[0:1], s[0:1], 3
	v_ashrrev_i32_e32 v1, 31, v0
	s_add_u32 s0, s2, s0
	s_addc_u32 s1, s3, s1
	s_delay_alu instid0(VALU_DEP_2)
	v_add_co_u32 v2, vcc_lo, s0, v2
	v_add_co_ci_u32_e32 v3, vcc_lo, s1, v3, vcc_lo
	s_mul_i32 s0, s14, s9
	s_mul_hi_u32 s1, s14, s8
	v_lshlrev_b64 v[0:1], 3, v[0:1]
	global_load_b64 v[4:5], v[2:3], off
	s_add_i32 s1, s1, s0
	s_mul_i32 s0, s14, s8
	s_add_i32 s1, s1, s16
	s_delay_alu instid0(SALU_CYCLE_1) | instskip(NEXT) | instid1(SALU_CYCLE_1)
	s_lshl_b64 s[0:1], s[0:1], 3
	s_add_u32 s2, s4, s0
	s_addc_u32 s3, s5, s1
	s_lshl_b64 s[0:1], s[6:7], 3
	s_delay_alu instid0(SALU_CYCLE_1)
	s_add_u32 s0, s2, s0
	s_addc_u32 s1, s3, s1
	v_add_co_u32 v0, vcc_lo, s0, v0
	v_add_co_ci_u32_e32 v1, vcc_lo, s1, v1, vcc_lo
	s_and_b32 vcc_lo, exec_lo, s15
	s_waitcnt vmcnt(0)
	global_store_b64 v[0:1], v[4:5], off
	s_cbranch_vccnz .LBB55_3
; %bb.2:
	global_load_b64 v[0:1], v[2:3], off
	s_branch .LBB55_4
.LBB55_3:
	v_dual_mov_b32 v1, 0 :: v_dual_mov_b32 v0, 1.0
.LBB55_4:
	s_waitcnt vmcnt(0)
	global_store_b64 v[2:3], v[0:1], off
.LBB55_5:
	s_nop 0
	s_sendmsg sendmsg(MSG_DEALLOC_VGPRS)
	s_endpgm
	.section	.rodata,"a",@progbits
	.p2align	6, 0x0
	.amdhsa_kernel _ZN9rocsolver6v33100L8set_diagI19rocblas_complex_numIfEiS3_PS3_TnNSt9enable_ifIXoont18rocblas_is_complexIT_E18rocblas_is_complexIT1_EEiE4typeELi0EEEvPS7_llT2_lT0_lSC_b
		.amdhsa_group_segment_fixed_size 0
		.amdhsa_private_segment_fixed_size 0
		.amdhsa_kernarg_size 320
		.amdhsa_user_sgpr_count 14
		.amdhsa_user_sgpr_dispatch_ptr 0
		.amdhsa_user_sgpr_queue_ptr 0
		.amdhsa_user_sgpr_kernarg_segment_ptr 1
		.amdhsa_user_sgpr_dispatch_id 0
		.amdhsa_user_sgpr_private_segment_size 0
		.amdhsa_wavefront_size32 1
		.amdhsa_uses_dynamic_stack 0
		.amdhsa_enable_private_segment 0
		.amdhsa_system_sgpr_workgroup_id_x 1
		.amdhsa_system_sgpr_workgroup_id_y 1
		.amdhsa_system_sgpr_workgroup_id_z 0
		.amdhsa_system_sgpr_workgroup_info 0
		.amdhsa_system_vgpr_workitem_id 1
		.amdhsa_next_free_vgpr 6
		.amdhsa_next_free_sgpr 17
		.amdhsa_reserve_vcc 1
		.amdhsa_float_round_mode_32 0
		.amdhsa_float_round_mode_16_64 0
		.amdhsa_float_denorm_mode_32 3
		.amdhsa_float_denorm_mode_16_64 3
		.amdhsa_dx10_clamp 1
		.amdhsa_ieee_mode 1
		.amdhsa_fp16_overflow 0
		.amdhsa_workgroup_processor_mode 1
		.amdhsa_memory_ordered 1
		.amdhsa_forward_progress 0
		.amdhsa_shared_vgpr_count 0
		.amdhsa_exception_fp_ieee_invalid_op 0
		.amdhsa_exception_fp_denorm_src 0
		.amdhsa_exception_fp_ieee_div_zero 0
		.amdhsa_exception_fp_ieee_overflow 0
		.amdhsa_exception_fp_ieee_underflow 0
		.amdhsa_exception_fp_ieee_inexact 0
		.amdhsa_exception_int_div_zero 0
	.end_amdhsa_kernel
	.section	.text._ZN9rocsolver6v33100L8set_diagI19rocblas_complex_numIfEiS3_PS3_TnNSt9enable_ifIXoont18rocblas_is_complexIT_E18rocblas_is_complexIT1_EEiE4typeELi0EEEvPS7_llT2_lT0_lSC_b,"axG",@progbits,_ZN9rocsolver6v33100L8set_diagI19rocblas_complex_numIfEiS3_PS3_TnNSt9enable_ifIXoont18rocblas_is_complexIT_E18rocblas_is_complexIT1_EEiE4typeELi0EEEvPS7_llT2_lT0_lSC_b,comdat
.Lfunc_end55:
	.size	_ZN9rocsolver6v33100L8set_diagI19rocblas_complex_numIfEiS3_PS3_TnNSt9enable_ifIXoont18rocblas_is_complexIT_E18rocblas_is_complexIT1_EEiE4typeELi0EEEvPS7_llT2_lT0_lSC_b, .Lfunc_end55-_ZN9rocsolver6v33100L8set_diagI19rocblas_complex_numIfEiS3_PS3_TnNSt9enable_ifIXoont18rocblas_is_complexIT_E18rocblas_is_complexIT1_EEiE4typeELi0EEEvPS7_llT2_lT0_lSC_b
                                        ; -- End function
	.section	.AMDGPU.csdata,"",@progbits
; Kernel info:
; codeLenInByte = 356
; NumSgprs: 19
; NumVgprs: 6
; ScratchSize: 0
; MemoryBound: 0
; FloatMode: 240
; IeeeMode: 1
; LDSByteSize: 0 bytes/workgroup (compile time only)
; SGPRBlocks: 2
; VGPRBlocks: 0
; NumSGPRsForWavesPerEU: 19
; NumVGPRsForWavesPerEU: 6
; Occupancy: 16
; WaveLimiterHint : 0
; COMPUTE_PGM_RSRC2:SCRATCH_EN: 0
; COMPUTE_PGM_RSRC2:USER_SGPR: 14
; COMPUTE_PGM_RSRC2:TRAP_HANDLER: 0
; COMPUTE_PGM_RSRC2:TGID_X_EN: 1
; COMPUTE_PGM_RSRC2:TGID_Y_EN: 1
; COMPUTE_PGM_RSRC2:TGID_Z_EN: 0
; COMPUTE_PGM_RSRC2:TIDIG_COMP_CNT: 1
	.section	.text._ZN9rocsolver6v33100L12restore_diagI19rocblas_complex_numIfEiS3_PS3_EEvPT1_llT2_lT0_lS8_,"axG",@progbits,_ZN9rocsolver6v33100L12restore_diagI19rocblas_complex_numIfEiS3_PS3_EEvPT1_llT2_lT0_lS8_,comdat
	.globl	_ZN9rocsolver6v33100L12restore_diagI19rocblas_complex_numIfEiS3_PS3_EEvPT1_llT2_lT0_lS8_ ; -- Begin function _ZN9rocsolver6v33100L12restore_diagI19rocblas_complex_numIfEiS3_PS3_EEvPT1_llT2_lT0_lS8_
	.p2align	8
	.type	_ZN9rocsolver6v33100L12restore_diagI19rocblas_complex_numIfEiS3_PS3_EEvPT1_llT2_lT0_lS8_,@function
_ZN9rocsolver6v33100L12restore_diagI19rocblas_complex_numIfEiS3_PS3_EEvPT1_llT2_lT0_lS8_: ; @_ZN9rocsolver6v33100L12restore_diagI19rocblas_complex_numIfEiS3_PS3_EEvPT1_llT2_lT0_lS8_
; %bb.0:
	s_clause 0x1
	s_load_b32 s2, s[0:1], 0x4c
	s_load_b32 s3, s[0:1], 0x38
	v_bfe_u32 v2, v0, 10, 10
	s_waitcnt lgkmcnt(0)
	s_lshr_b32 s2, s2, 16
	s_delay_alu instid0(VALU_DEP_1) | instid1(SALU_CYCLE_1)
	v_mad_u64_u32 v[0:1], null, s15, s2, v[2:3]
	s_mov_b32 s2, exec_lo
	s_delay_alu instid0(VALU_DEP_1)
	v_cmpx_gt_i32_e64 s3, v0
	s_cbranch_execz .LBB56_2
; %bb.1:
	s_clause 0x3
	s_load_b64 s[2:3], s[0:1], 0x30
	s_load_b256 s[4:11], s[0:1], 0x0
	s_load_b32 s12, s[0:1], 0x28
	s_load_b64 s[0:1], s[0:1], 0x20
	s_ashr_i32 s13, s14, 31
	s_waitcnt lgkmcnt(0)
	s_mul_i32 s3, s14, s3
	s_mul_hi_u32 s15, s14, s2
	s_mul_i32 s16, s13, s2
	s_add_i32 s3, s15, s3
	s_mul_i32 s2, s14, s2
	s_add_i32 s3, s3, s16
	s_mul_i32 s9, s14, s9
	s_lshl_b64 s[2:3], s[2:3], 3
	s_mul_hi_u32 s15, s14, s8
	s_add_u32 s2, s10, s2
	s_addc_u32 s3, s11, s3
	s_lshl_b64 s[0:1], s[0:1], 3
	s_mul_i32 s13, s13, s8
	s_add_u32 s2, s2, s0
	v_mad_u64_u32 v[2:3], null, v0, s12, v[0:1]
	v_ashrrev_i32_e32 v1, 31, v0
	s_addc_u32 s3, s3, s1
	s_add_i32 s1, s15, s9
	s_mul_i32 s0, s14, s8
	s_add_i32 s1, s1, s13
	v_lshlrev_b64 v[0:1], 3, v[0:1]
	s_lshl_b64 s[0:1], s[0:1], 3
	v_ashrrev_i32_e32 v3, 31, v2
	s_add_u32 s4, s4, s0
	s_addc_u32 s5, s5, s1
	s_lshl_b64 s[0:1], s[6:7], 3
	s_delay_alu instid0(SALU_CYCLE_1)
	s_add_u32 s0, s4, s0
	s_addc_u32 s1, s5, s1
	v_add_co_u32 v0, vcc_lo, s0, v0
	v_add_co_ci_u32_e32 v1, vcc_lo, s1, v1, vcc_lo
	v_lshlrev_b64 v[2:3], 3, v[2:3]
	global_load_b64 v[0:1], v[0:1], off
	v_add_co_u32 v2, vcc_lo, s2, v2
	v_add_co_ci_u32_e32 v3, vcc_lo, s3, v3, vcc_lo
	s_waitcnt vmcnt(0)
	global_store_b64 v[2:3], v[0:1], off
.LBB56_2:
	s_nop 0
	s_sendmsg sendmsg(MSG_DEALLOC_VGPRS)
	s_endpgm
	.section	.rodata,"a",@progbits
	.p2align	6, 0x0
	.amdhsa_kernel _ZN9rocsolver6v33100L12restore_diagI19rocblas_complex_numIfEiS3_PS3_EEvPT1_llT2_lT0_lS8_
		.amdhsa_group_segment_fixed_size 0
		.amdhsa_private_segment_fixed_size 0
		.amdhsa_kernarg_size 320
		.amdhsa_user_sgpr_count 14
		.amdhsa_user_sgpr_dispatch_ptr 0
		.amdhsa_user_sgpr_queue_ptr 0
		.amdhsa_user_sgpr_kernarg_segment_ptr 1
		.amdhsa_user_sgpr_dispatch_id 0
		.amdhsa_user_sgpr_private_segment_size 0
		.amdhsa_wavefront_size32 1
		.amdhsa_uses_dynamic_stack 0
		.amdhsa_enable_private_segment 0
		.amdhsa_system_sgpr_workgroup_id_x 1
		.amdhsa_system_sgpr_workgroup_id_y 1
		.amdhsa_system_sgpr_workgroup_id_z 0
		.amdhsa_system_sgpr_workgroup_info 0
		.amdhsa_system_vgpr_workitem_id 1
		.amdhsa_next_free_vgpr 4
		.amdhsa_next_free_sgpr 17
		.amdhsa_reserve_vcc 1
		.amdhsa_float_round_mode_32 0
		.amdhsa_float_round_mode_16_64 0
		.amdhsa_float_denorm_mode_32 3
		.amdhsa_float_denorm_mode_16_64 3
		.amdhsa_dx10_clamp 1
		.amdhsa_ieee_mode 1
		.amdhsa_fp16_overflow 0
		.amdhsa_workgroup_processor_mode 1
		.amdhsa_memory_ordered 1
		.amdhsa_forward_progress 0
		.amdhsa_shared_vgpr_count 0
		.amdhsa_exception_fp_ieee_invalid_op 0
		.amdhsa_exception_fp_denorm_src 0
		.amdhsa_exception_fp_ieee_div_zero 0
		.amdhsa_exception_fp_ieee_overflow 0
		.amdhsa_exception_fp_ieee_underflow 0
		.amdhsa_exception_fp_ieee_inexact 0
		.amdhsa_exception_int_div_zero 0
	.end_amdhsa_kernel
	.section	.text._ZN9rocsolver6v33100L12restore_diagI19rocblas_complex_numIfEiS3_PS3_EEvPT1_llT2_lT0_lS8_,"axG",@progbits,_ZN9rocsolver6v33100L12restore_diagI19rocblas_complex_numIfEiS3_PS3_EEvPT1_llT2_lT0_lS8_,comdat
.Lfunc_end56:
	.size	_ZN9rocsolver6v33100L12restore_diagI19rocblas_complex_numIfEiS3_PS3_EEvPT1_llT2_lT0_lS8_, .Lfunc_end56-_ZN9rocsolver6v33100L12restore_diagI19rocblas_complex_numIfEiS3_PS3_EEvPT1_llT2_lT0_lS8_
                                        ; -- End function
	.section	.AMDGPU.csdata,"",@progbits
; Kernel info:
; codeLenInByte = 300
; NumSgprs: 19
; NumVgprs: 4
; ScratchSize: 0
; MemoryBound: 0
; FloatMode: 240
; IeeeMode: 1
; LDSByteSize: 0 bytes/workgroup (compile time only)
; SGPRBlocks: 2
; VGPRBlocks: 0
; NumSGPRsForWavesPerEU: 19
; NumVGPRsForWavesPerEU: 4
; Occupancy: 16
; WaveLimiterHint : 0
; COMPUTE_PGM_RSRC2:SCRATCH_EN: 0
; COMPUTE_PGM_RSRC2:USER_SGPR: 14
; COMPUTE_PGM_RSRC2:TRAP_HANDLER: 0
; COMPUTE_PGM_RSRC2:TGID_X_EN: 1
; COMPUTE_PGM_RSRC2:TGID_Y_EN: 1
; COMPUTE_PGM_RSRC2:TGID_Z_EN: 0
; COMPUTE_PGM_RSRC2:TIDIG_COMP_CNT: 1
	.section	.text._ZN9rocsolver6v33100L17check_singularityI19rocblas_complex_numIfEPS3_EEviT0_iilPi,"axG",@progbits,_ZN9rocsolver6v33100L17check_singularityI19rocblas_complex_numIfEPS3_EEviT0_iilPi,comdat
	.globl	_ZN9rocsolver6v33100L17check_singularityI19rocblas_complex_numIfEPS3_EEviT0_iilPi ; -- Begin function _ZN9rocsolver6v33100L17check_singularityI19rocblas_complex_numIfEPS3_EEviT0_iilPi
	.p2align	8
	.type	_ZN9rocsolver6v33100L17check_singularityI19rocblas_complex_numIfEPS3_EEviT0_iilPi,@function
_ZN9rocsolver6v33100L17check_singularityI19rocblas_complex_numIfEPS3_EEviT0_iilPi: ; @_ZN9rocsolver6v33100L17check_singularityI19rocblas_complex_numIfEPS3_EEviT0_iilPi
; %bb.0:
	v_bfe_u32 v0, v0, 10, 10
	s_mov_b32 s8, s15
	s_delay_alu instid0(VALU_DEP_1)
	v_cmp_eq_u32_e32 vcc_lo, 0, v0
	s_and_saveexec_b32 s2, vcc_lo
	s_cbranch_execz .LBB57_2
; %bb.1:
	v_mov_b32_e32 v1, 0
	ds_store_b32 v1, v1
.LBB57_2:
	s_or_b32 exec_lo, exec_lo, s2
	s_clause 0x1
	s_load_b32 s3, s[0:1], 0x0
	s_load_b128 s[4:7], s[0:1], 0x18
	s_ashr_i32 s9, s8, 31
	s_mov_b32 s10, exec_lo
	s_waitcnt lgkmcnt(0)
	s_barrier
	buffer_gl0_inv
	v_cmpx_gt_i32_e64 s3, v0
	s_cbranch_execz .LBB57_9
; %bb.3:
	s_clause 0x1
	s_load_b128 s[12:15], s[0:1], 0x8
	s_load_b32 s11, s[0:1], 0x34
	s_mul_i32 s0, s8, s5
	s_mul_hi_u32 s1, s8, s4
	s_mul_i32 s2, s9, s4
	s_add_i32 s1, s1, s0
	s_mul_i32 s0, s8, s4
	s_add_i32 s1, s1, s2
	v_mov_b32_e32 v1, 0
	s_lshl_b64 s[0:1], s[0:1], 3
	s_waitcnt lgkmcnt(0)
	s_ashr_i32 s5, s14, 31
	s_mov_b32 s4, s14
	s_add_u32 s2, s12, s0
	s_addc_u32 s12, s13, s1
	s_lshl_b64 s[0:1], s[4:5], 3
	s_delay_alu instid0(SALU_CYCLE_1)
	s_add_u32 s2, s2, s0
	s_addc_u32 s4, s12, s1
	s_add_i32 s5, s15, 1
	s_lshr_b32 s11, s11, 16
	s_mov_b32 s12, 0
	s_branch .LBB57_5
.LBB57_4:                               ;   in Loop: Header=BB57_5 Depth=1
	s_or_b32 exec_lo, exec_lo, s13
	v_add_nc_u32_e32 v0, s11, v0
	s_delay_alu instid0(VALU_DEP_1) | instskip(NEXT) | instid1(VALU_DEP_1)
	v_cmp_le_i32_e64 s0, s3, v0
	s_or_b32 s12, s0, s12
	s_delay_alu instid0(SALU_CYCLE_1)
	s_and_not1_b32 exec_lo, exec_lo, s12
	s_cbranch_execz .LBB57_9
.LBB57_5:                               ; =>This Loop Header: Depth=1
                                        ;     Child Loop BB57_8 Depth 2
	v_mul_lo_u32 v2, v0, s5
	s_delay_alu instid0(VALU_DEP_1) | instskip(NEXT) | instid1(VALU_DEP_1)
	v_ashrrev_i32_e32 v3, 31, v2
	v_lshlrev_b64 v[2:3], 3, v[2:3]
	s_delay_alu instid0(VALU_DEP_1) | instskip(NEXT) | instid1(VALU_DEP_1)
	v_add_co_u32 v2, s0, s2, v2
	v_add_co_ci_u32_e64 v3, s0, s4, v3, s0
	global_load_b64 v[2:3], v[2:3], off
	s_waitcnt vmcnt(0)
	v_cmp_eq_f32_e64 s0, 0, v2
	v_cmp_eq_f32_e64 s1, 0, v3
	s_delay_alu instid0(VALU_DEP_1) | instskip(NEXT) | instid1(SALU_CYCLE_1)
	s_and_b32 s0, s0, s1
	s_and_saveexec_b32 s13, s0
	s_cbranch_execz .LBB57_4
; %bb.6:                                ;   in Loop: Header=BB57_5 Depth=1
	ds_load_b32 v2, v1
	s_waitcnt lgkmcnt(0)
	v_readfirstlane_b32 s1, v2
	v_add_nc_u32_e32 v2, 1, v0
	s_delay_alu instid0(VALU_DEP_2) | instskip(NEXT) | instid1(VALU_DEP_1)
	s_cmp_eq_u32 s1, 0
	v_cmp_gt_i32_e64 s0, s1, v2
	s_cselect_b32 s14, -1, 0
	s_delay_alu instid0(VALU_DEP_1) | instid1(SALU_CYCLE_1)
	s_or_b32 s0, s14, s0
	s_delay_alu instid0(SALU_CYCLE_1)
	s_and_b32 exec_lo, exec_lo, s0
	s_cbranch_execz .LBB57_4
; %bb.7:                                ;   in Loop: Header=BB57_5 Depth=1
	v_mov_b32_e32 v3, s1
	s_mov_b32 s14, 0
.LBB57_8:                               ;   Parent Loop BB57_5 Depth=1
                                        ; =>  This Inner Loop Header: Depth=2
	ds_cmpstore_rtn_b32 v3, v1, v2, v3
	s_waitcnt lgkmcnt(0)
	v_cmp_ne_u32_e64 s0, 0, v3
	v_cmp_le_i32_e64 s1, v3, v2
	s_delay_alu instid0(VALU_DEP_1) | instskip(NEXT) | instid1(SALU_CYCLE_1)
	s_and_b32 s0, s0, s1
	s_and_b32 s0, exec_lo, s0
	s_delay_alu instid0(SALU_CYCLE_1) | instskip(NEXT) | instid1(SALU_CYCLE_1)
	s_or_b32 s14, s0, s14
	s_and_not1_b32 exec_lo, exec_lo, s14
	s_cbranch_execnz .LBB57_8
	s_branch .LBB57_4
.LBB57_9:
	s_or_b32 exec_lo, exec_lo, s10
	s_barrier
	buffer_gl0_inv
	s_and_saveexec_b32 s0, vcc_lo
	s_cbranch_execz .LBB57_11
; %bb.10:
	v_mov_b32_e32 v0, 0
	s_lshl_b64 s[0:1], s[8:9], 2
	s_delay_alu instid0(SALU_CYCLE_1)
	s_add_u32 s0, s6, s0
	s_addc_u32 s1, s7, s1
	ds_load_b32 v1, v0
	s_waitcnt lgkmcnt(0)
	global_store_b32 v0, v1, s[0:1]
.LBB57_11:
	s_nop 0
	s_sendmsg sendmsg(MSG_DEALLOC_VGPRS)
	s_endpgm
	.section	.rodata,"a",@progbits
	.p2align	6, 0x0
	.amdhsa_kernel _ZN9rocsolver6v33100L17check_singularityI19rocblas_complex_numIfEPS3_EEviT0_iilPi
		.amdhsa_group_segment_fixed_size 4
		.amdhsa_private_segment_fixed_size 0
		.amdhsa_kernarg_size 296
		.amdhsa_user_sgpr_count 15
		.amdhsa_user_sgpr_dispatch_ptr 0
		.amdhsa_user_sgpr_queue_ptr 0
		.amdhsa_user_sgpr_kernarg_segment_ptr 1
		.amdhsa_user_sgpr_dispatch_id 0
		.amdhsa_user_sgpr_private_segment_size 0
		.amdhsa_wavefront_size32 1
		.amdhsa_uses_dynamic_stack 0
		.amdhsa_enable_private_segment 0
		.amdhsa_system_sgpr_workgroup_id_x 1
		.amdhsa_system_sgpr_workgroup_id_y 0
		.amdhsa_system_sgpr_workgroup_id_z 0
		.amdhsa_system_sgpr_workgroup_info 0
		.amdhsa_system_vgpr_workitem_id 1
		.amdhsa_next_free_vgpr 4
		.amdhsa_next_free_sgpr 16
		.amdhsa_reserve_vcc 1
		.amdhsa_float_round_mode_32 0
		.amdhsa_float_round_mode_16_64 0
		.amdhsa_float_denorm_mode_32 3
		.amdhsa_float_denorm_mode_16_64 3
		.amdhsa_dx10_clamp 1
		.amdhsa_ieee_mode 1
		.amdhsa_fp16_overflow 0
		.amdhsa_workgroup_processor_mode 1
		.amdhsa_memory_ordered 1
		.amdhsa_forward_progress 0
		.amdhsa_shared_vgpr_count 0
		.amdhsa_exception_fp_ieee_invalid_op 0
		.amdhsa_exception_fp_denorm_src 0
		.amdhsa_exception_fp_ieee_div_zero 0
		.amdhsa_exception_fp_ieee_overflow 0
		.amdhsa_exception_fp_ieee_underflow 0
		.amdhsa_exception_fp_ieee_inexact 0
		.amdhsa_exception_int_div_zero 0
	.end_amdhsa_kernel
	.section	.text._ZN9rocsolver6v33100L17check_singularityI19rocblas_complex_numIfEPS3_EEviT0_iilPi,"axG",@progbits,_ZN9rocsolver6v33100L17check_singularityI19rocblas_complex_numIfEPS3_EEviT0_iilPi,comdat
.Lfunc_end57:
	.size	_ZN9rocsolver6v33100L17check_singularityI19rocblas_complex_numIfEPS3_EEviT0_iilPi, .Lfunc_end57-_ZN9rocsolver6v33100L17check_singularityI19rocblas_complex_numIfEPS3_EEviT0_iilPi
                                        ; -- End function
	.section	.AMDGPU.csdata,"",@progbits
; Kernel info:
; codeLenInByte = 532
; NumSgprs: 18
; NumVgprs: 4
; ScratchSize: 0
; MemoryBound: 0
; FloatMode: 240
; IeeeMode: 1
; LDSByteSize: 4 bytes/workgroup (compile time only)
; SGPRBlocks: 2
; VGPRBlocks: 0
; NumSGPRsForWavesPerEU: 18
; NumVGPRsForWavesPerEU: 4
; Occupancy: 16
; WaveLimiterHint : 0
; COMPUTE_PGM_RSRC2:SCRATCH_EN: 0
; COMPUTE_PGM_RSRC2:USER_SGPR: 15
; COMPUTE_PGM_RSRC2:TRAP_HANDLER: 0
; COMPUTE_PGM_RSRC2:TGID_X_EN: 1
; COMPUTE_PGM_RSRC2:TGID_Y_EN: 0
; COMPUTE_PGM_RSRC2:TGID_Z_EN: 0
; COMPUTE_PGM_RSRC2:TIDIG_COMP_CNT: 1
	.section	.text._ZN9rocsolver6v33100L8copy_matI19rocblas_complex_numIfEPS3_NS0_9info_maskEEEvNS0_17copymat_directionEiiT0_iilPT_T1_13rocblas_fill_17rocblas_diagonal_,"axG",@progbits,_ZN9rocsolver6v33100L8copy_matI19rocblas_complex_numIfEPS3_NS0_9info_maskEEEvNS0_17copymat_directionEiiT0_iilPT_T1_13rocblas_fill_17rocblas_diagonal_,comdat
	.globl	_ZN9rocsolver6v33100L8copy_matI19rocblas_complex_numIfEPS3_NS0_9info_maskEEEvNS0_17copymat_directionEiiT0_iilPT_T1_13rocblas_fill_17rocblas_diagonal_ ; -- Begin function _ZN9rocsolver6v33100L8copy_matI19rocblas_complex_numIfEPS3_NS0_9info_maskEEEvNS0_17copymat_directionEiiT0_iilPT_T1_13rocblas_fill_17rocblas_diagonal_
	.p2align	8
	.type	_ZN9rocsolver6v33100L8copy_matI19rocblas_complex_numIfEPS3_NS0_9info_maskEEEvNS0_17copymat_directionEiiT0_iilPT_T1_13rocblas_fill_17rocblas_diagonal_,@function
_ZN9rocsolver6v33100L8copy_matI19rocblas_complex_numIfEPS3_NS0_9info_maskEEEvNS0_17copymat_directionEiiT0_iilPT_T1_13rocblas_fill_17rocblas_diagonal_: ; @_ZN9rocsolver6v33100L8copy_matI19rocblas_complex_numIfEPS3_NS0_9info_maskEEEvNS0_17copymat_directionEiiT0_iilPT_T1_13rocblas_fill_17rocblas_diagonal_
; %bb.0:
	s_clause 0x2
	s_load_b32 s6, s[0:1], 0x38
	s_load_b32 s7, s[0:1], 0x54
	s_load_b64 s[2:3], s[0:1], 0x30
	s_mov_b32 s16, s15
	s_ashr_i32 s17, s15, 31
	v_bfe_u32 v2, v0, 10, 10
	s_lshl_b64 s[4:5], s[16:17], 2
	v_and_b32_e32 v3, 0x3ff, v0
	s_waitcnt lgkmcnt(0)
	s_and_b32 s8, s6, 0xff
	s_lshr_b32 s9, s7, 16
	s_and_b32 s10, s7, 0xffff
	s_add_u32 s2, s2, s4
	s_addc_u32 s3, s3, s5
	s_load_b32 s2, s[2:3], 0x0
	s_load_b128 s[4:7], s[0:1], 0x0
	v_mad_u64_u32 v[0:1], null, s14, s9, v[2:3]
	v_mad_u64_u32 v[1:2], null, s13, s10, v[3:4]
	s_waitcnt lgkmcnt(0)
	s_cmp_lg_u32 s2, 0
	s_delay_alu instid0(VALU_DEP_1) | instskip(SKIP_1) | instid1(SALU_CYCLE_1)
	v_cmp_gt_u32_e32 vcc_lo, s5, v1
	s_cselect_b32 s2, -1, 0
	v_cndmask_b32_e64 v2, 0, 1, s2
	s_delay_alu instid0(VALU_DEP_4) | instskip(NEXT) | instid1(VALU_DEP_2)
	v_cmp_gt_u32_e64 s2, s6, v0
	v_readfirstlane_b32 s3, v2
	s_delay_alu instid0(VALU_DEP_1) | instskip(SKIP_1) | instid1(VALU_DEP_2)
	s_cmp_lg_u32 s8, s3
	s_cselect_b32 s3, -1, 0
	s_and_b32 s2, s2, vcc_lo
	s_delay_alu instid0(SALU_CYCLE_1) | instskip(NEXT) | instid1(SALU_CYCLE_1)
	s_and_b32 s2, s3, s2
	s_and_saveexec_b32 s3, s2
	s_cbranch_execz .LBB58_14
; %bb.1:
	s_clause 0x1
	s_load_b128 s[8:11], s[0:1], 0x20
	s_load_b64 s[12:13], s[0:1], 0x40
	s_waitcnt lgkmcnt(0)
	s_cmpk_lt_i32 s12, 0x7a
	s_cbranch_scc1 .LBB58_4
; %bb.2:
	s_cmpk_gt_i32 s12, 0x7a
	s_cbranch_scc0 .LBB58_5
; %bb.3:
	s_cmpk_lg_i32 s12, 0x7b
	s_mov_b32 s3, -1
	s_cselect_b32 s7, -1, 0
	s_cbranch_execz .LBB58_6
	s_branch .LBB58_7
.LBB58_4:
	s_mov_b32 s7, 0
	s_mov_b32 s3, 0
	s_cbranch_execnz .LBB58_8
	s_branch .LBB58_10
.LBB58_5:
	s_mov_b32 s3, 0
	s_mov_b32 s7, 0
.LBB58_6:
	v_cmp_gt_u32_e32 vcc_lo, v1, v0
	v_cmp_le_u32_e64 s2, v1, v0
	s_and_not1_b32 s3, s3, exec_lo
	s_and_not1_b32 s7, s7, exec_lo
	s_and_b32 s14, vcc_lo, exec_lo
	s_delay_alu instid0(VALU_DEP_1)
	s_and_b32 s2, s2, exec_lo
	s_or_b32 s3, s3, s14
	s_or_b32 s7, s7, s2
.LBB58_7:
	s_branch .LBB58_10
.LBB58_8:
	s_cmpk_eq_i32 s12, 0x79
	s_mov_b32 s7, -1
	s_cbranch_scc0 .LBB58_10
; %bb.9:
	v_cmp_gt_u32_e32 vcc_lo, v0, v1
	v_cmp_le_u32_e64 s2, v0, v1
	s_and_not1_b32 s3, s3, exec_lo
	s_and_b32 s7, vcc_lo, exec_lo
	s_delay_alu instid0(SALU_CYCLE_1) | instskip(NEXT) | instid1(VALU_DEP_1)
	s_or_b32 s3, s3, s7
	s_or_not1_b32 s7, s2, exec_lo
.LBB58_10:
	s_delay_alu instid0(SALU_CYCLE_1)
	s_and_saveexec_b32 s2, s7
; %bb.11:
	v_cmp_eq_u32_e32 vcc_lo, v1, v0
	s_cmpk_eq_i32 s13, 0x83
	s_cselect_b32 s7, -1, 0
	s_and_not1_b32 s3, s3, exec_lo
	s_and_b32 s7, s7, vcc_lo
	s_delay_alu instid0(SALU_CYCLE_1) | instskip(NEXT) | instid1(SALU_CYCLE_1)
	s_and_b32 s7, s7, exec_lo
	s_or_b32 s3, s3, s7
; %bb.12:
	s_or_b32 exec_lo, exec_lo, s2
	s_delay_alu instid0(SALU_CYCLE_1)
	s_and_b32 exec_lo, exec_lo, s3
	s_cbranch_execz .LBB58_14
; %bb.13:
	s_load_b128 s[0:3], s[0:1], 0x10
	s_mul_i32 s9, s16, s9
	s_mul_hi_u32 s13, s16, s8
	s_mul_i32 s8, s16, s8
	s_add_i32 s9, s13, s9
	s_ashr_i32 s7, s5, 31
	s_ashr_i32 s12, s6, 31
	s_mul_i32 s15, s5, s16
	s_lshl_b64 s[8:9], s[8:9], 3
	s_mul_hi_u32 s14, s5, s16
	s_mul_i32 s7, s7, s16
	s_mul_i32 s16, s15, s12
	s_waitcnt lgkmcnt(0)
	s_ashr_i32 s13, s2, 31
	s_mov_b32 s12, s2
	s_add_u32 s2, s0, s8
	s_addc_u32 s8, s1, s9
	s_lshl_b64 s[0:1], s[12:13], 3
	s_mul_hi_u32 s9, s15, s6
	s_add_u32 s2, s2, s0
	s_addc_u32 s8, s8, s1
	s_add_i32 s0, s14, s7
	s_add_i32 s1, s9, s16
	s_mul_i32 s7, s0, s6
	s_mul_i32 s0, s15, s6
	s_add_i32 s1, s1, s7
	s_delay_alu instid0(SALU_CYCLE_1) | instskip(NEXT) | instid1(SALU_CYCLE_1)
	s_lshl_b64 s[0:1], s[0:1], 3
	s_add_u32 s0, s10, s0
	s_addc_u32 s1, s11, s1
	s_cmp_eq_u32 s4, 0
	s_cselect_b32 s4, s3, s5
	s_cselect_b32 s6, s2, s0
	v_mad_u64_u32 v[2:3], null, v0, s4, v[1:2]
	v_mov_b32_e32 v3, 0
	s_cselect_b32 s4, s8, s1
	s_cselect_b32 s3, s5, s3
	;; [unrolled: 1-line block ×4, first 2 shown]
	s_delay_alu instid0(VALU_DEP_2) | instskip(SKIP_2) | instid1(VALU_DEP_3)
	v_lshlrev_b64 v[4:5], 3, v[2:3]
	v_mad_u64_u32 v[6:7], null, v0, s3, v[1:2]
	v_mov_b32_e32 v7, v3
	v_add_co_u32 v4, vcc_lo, s6, v4
	s_delay_alu instid0(VALU_DEP_4) | instskip(NEXT) | instid1(VALU_DEP_3)
	v_add_co_ci_u32_e32 v5, vcc_lo, s4, v5, vcc_lo
	v_lshlrev_b64 v[0:1], 3, v[6:7]
	global_load_b64 v[4:5], v[4:5], off
	v_add_co_u32 v0, vcc_lo, s0, v0
	v_add_co_ci_u32_e32 v1, vcc_lo, s1, v1, vcc_lo
	s_waitcnt vmcnt(0)
	global_store_b64 v[0:1], v[4:5], off
.LBB58_14:
	s_nop 0
	s_sendmsg sendmsg(MSG_DEALLOC_VGPRS)
	s_endpgm
	.section	.rodata,"a",@progbits
	.p2align	6, 0x0
	.amdhsa_kernel _ZN9rocsolver6v33100L8copy_matI19rocblas_complex_numIfEPS3_NS0_9info_maskEEEvNS0_17copymat_directionEiiT0_iilPT_T1_13rocblas_fill_17rocblas_diagonal_
		.amdhsa_group_segment_fixed_size 0
		.amdhsa_private_segment_fixed_size 0
		.amdhsa_kernarg_size 328
		.amdhsa_user_sgpr_count 13
		.amdhsa_user_sgpr_dispatch_ptr 0
		.amdhsa_user_sgpr_queue_ptr 0
		.amdhsa_user_sgpr_kernarg_segment_ptr 1
		.amdhsa_user_sgpr_dispatch_id 0
		.amdhsa_user_sgpr_private_segment_size 0
		.amdhsa_wavefront_size32 1
		.amdhsa_uses_dynamic_stack 0
		.amdhsa_enable_private_segment 0
		.amdhsa_system_sgpr_workgroup_id_x 1
		.amdhsa_system_sgpr_workgroup_id_y 1
		.amdhsa_system_sgpr_workgroup_id_z 1
		.amdhsa_system_sgpr_workgroup_info 0
		.amdhsa_system_vgpr_workitem_id 1
		.amdhsa_next_free_vgpr 8
		.amdhsa_next_free_sgpr 18
		.amdhsa_reserve_vcc 1
		.amdhsa_float_round_mode_32 0
		.amdhsa_float_round_mode_16_64 0
		.amdhsa_float_denorm_mode_32 3
		.amdhsa_float_denorm_mode_16_64 3
		.amdhsa_dx10_clamp 1
		.amdhsa_ieee_mode 1
		.amdhsa_fp16_overflow 0
		.amdhsa_workgroup_processor_mode 1
		.amdhsa_memory_ordered 1
		.amdhsa_forward_progress 0
		.amdhsa_shared_vgpr_count 0
		.amdhsa_exception_fp_ieee_invalid_op 0
		.amdhsa_exception_fp_denorm_src 0
		.amdhsa_exception_fp_ieee_div_zero 0
		.amdhsa_exception_fp_ieee_overflow 0
		.amdhsa_exception_fp_ieee_underflow 0
		.amdhsa_exception_fp_ieee_inexact 0
		.amdhsa_exception_int_div_zero 0
	.end_amdhsa_kernel
	.section	.text._ZN9rocsolver6v33100L8copy_matI19rocblas_complex_numIfEPS3_NS0_9info_maskEEEvNS0_17copymat_directionEiiT0_iilPT_T1_13rocblas_fill_17rocblas_diagonal_,"axG",@progbits,_ZN9rocsolver6v33100L8copy_matI19rocblas_complex_numIfEPS3_NS0_9info_maskEEEvNS0_17copymat_directionEiiT0_iilPT_T1_13rocblas_fill_17rocblas_diagonal_,comdat
.Lfunc_end58:
	.size	_ZN9rocsolver6v33100L8copy_matI19rocblas_complex_numIfEPS3_NS0_9info_maskEEEvNS0_17copymat_directionEiiT0_iilPT_T1_13rocblas_fill_17rocblas_diagonal_, .Lfunc_end58-_ZN9rocsolver6v33100L8copy_matI19rocblas_complex_numIfEPS3_NS0_9info_maskEEEvNS0_17copymat_directionEiiT0_iilPT_T1_13rocblas_fill_17rocblas_diagonal_
                                        ; -- End function
	.section	.AMDGPU.csdata,"",@progbits
; Kernel info:
; codeLenInByte = 680
; NumSgprs: 20
; NumVgprs: 8
; ScratchSize: 0
; MemoryBound: 0
; FloatMode: 240
; IeeeMode: 1
; LDSByteSize: 0 bytes/workgroup (compile time only)
; SGPRBlocks: 2
; VGPRBlocks: 0
; NumSGPRsForWavesPerEU: 20
; NumVGPRsForWavesPerEU: 8
; Occupancy: 16
; WaveLimiterHint : 0
; COMPUTE_PGM_RSRC2:SCRATCH_EN: 0
; COMPUTE_PGM_RSRC2:USER_SGPR: 13
; COMPUTE_PGM_RSRC2:TRAP_HANDLER: 0
; COMPUTE_PGM_RSRC2:TGID_X_EN: 1
; COMPUTE_PGM_RSRC2:TGID_Y_EN: 1
; COMPUTE_PGM_RSRC2:TGID_Z_EN: 1
; COMPUTE_PGM_RSRC2:TIDIG_COMP_CNT: 1
	.section	.text._ZN9rocsolver6v33100L13gels_set_zeroI19rocblas_complex_numIfEPS3_EEviiiT0_iilPKi,"axG",@progbits,_ZN9rocsolver6v33100L13gels_set_zeroI19rocblas_complex_numIfEPS3_EEviiiT0_iilPKi,comdat
	.globl	_ZN9rocsolver6v33100L13gels_set_zeroI19rocblas_complex_numIfEPS3_EEviiiT0_iilPKi ; -- Begin function _ZN9rocsolver6v33100L13gels_set_zeroI19rocblas_complex_numIfEPS3_EEviiiT0_iilPKi
	.p2align	8
	.type	_ZN9rocsolver6v33100L13gels_set_zeroI19rocblas_complex_numIfEPS3_EEviiiT0_iilPKi,@function
_ZN9rocsolver6v33100L13gels_set_zeroI19rocblas_complex_numIfEPS3_EEviiiT0_iilPKi: ; @_ZN9rocsolver6v33100L13gels_set_zeroI19rocblas_complex_numIfEPS3_EEviiiT0_iilPKi
; %bb.0:
	s_clause 0x1
	s_load_b32 s2, s[0:1], 0x3c
	s_load_b128 s[4:7], s[0:1], 0x0
	v_and_b32_e32 v2, 0x3ff, v0
	v_bfe_u32 v3, v0, 10, 10
	s_waitcnt lgkmcnt(0)
	s_lshr_b32 s3, s2, 16
	s_and_b32 s2, s2, 0xffff
	s_delay_alu instid0(VALU_DEP_1) | instid1(SALU_CYCLE_1)
	v_mad_u64_u32 v[0:1], null, s13, s2, v[2:3]
	v_mad_u64_u32 v[1:2], null, s14, s3, v[3:4]
	s_sub_i32 s2, s5, s4
	s_delay_alu instid0(VALU_DEP_2) | instid1(SALU_CYCLE_1)
	v_cmp_gt_u32_e32 vcc_lo, s2, v0
	s_delay_alu instid0(VALU_DEP_2) | instskip(NEXT) | instid1(VALU_DEP_1)
	v_cmp_gt_u32_e64 s2, s6, v1
	s_and_b32 s2, s2, vcc_lo
	s_delay_alu instid0(SALU_CYCLE_1)
	s_and_saveexec_b32 s3, s2
	s_cbranch_execz .LBB59_2
; %bb.1:
	s_load_b128 s[8:11], s[0:1], 0x20
	s_mov_b32 s12, s15
	s_mov_b32 s13, 0
	s_delay_alu instid0(SALU_CYCLE_1)
	s_lshl_b64 s[2:3], s[12:13], 2
	s_waitcnt lgkmcnt(0)
	s_add_u32 s2, s10, s2
	s_addc_u32 s3, s11, s3
	s_load_b32 s2, s[2:3], 0x0
	s_waitcnt lgkmcnt(0)
	s_cmp_lg_u32 s2, 0
	s_cbranch_scc0 .LBB59_3
.LBB59_2:
	s_endpgm
.LBB59_3:
	s_load_b128 s[0:3], s[0:1], 0x10
	s_mul_hi_u32 s5, s12, s8
	s_mul_i32 s6, s12, s8
	s_waitcnt lgkmcnt(0)
	v_mul_lo_u32 v2, v1, s3
	s_mul_i32 s3, s12, s9
	v_mov_b32_e32 v1, 0
	s_add_i32 s7, s5, s3
	s_ashr_i32 s3, s2, 31
	s_lshl_b64 s[6:7], s[6:7], 3
	s_delay_alu instid0(VALU_DEP_2) | instskip(SKIP_3) | instid1(SALU_CYCLE_1)
	v_add3_u32 v0, v0, s4, v2
	s_add_u32 s4, s0, s6
	s_addc_u32 s5, s1, s7
	s_lshl_b64 s[0:1], s[2:3], 3
	s_add_u32 s0, s4, s0
	v_lshlrev_b64 v[2:3], 3, v[0:1]
	s_addc_u32 s1, s5, s1
	v_mov_b32_e32 v0, v1
	s_delay_alu instid0(VALU_DEP_2) | instskip(NEXT) | instid1(VALU_DEP_3)
	v_add_co_u32 v2, vcc_lo, s0, v2
	v_add_co_ci_u32_e32 v3, vcc_lo, s1, v3, vcc_lo
	global_store_b64 v[2:3], v[0:1], off
	s_nop 0
	s_sendmsg sendmsg(MSG_DEALLOC_VGPRS)
	s_endpgm
	.section	.rodata,"a",@progbits
	.p2align	6, 0x0
	.amdhsa_kernel _ZN9rocsolver6v33100L13gels_set_zeroI19rocblas_complex_numIfEPS3_EEviiiT0_iilPKi
		.amdhsa_group_segment_fixed_size 0
		.amdhsa_private_segment_fixed_size 0
		.amdhsa_kernarg_size 304
		.amdhsa_user_sgpr_count 13
		.amdhsa_user_sgpr_dispatch_ptr 0
		.amdhsa_user_sgpr_queue_ptr 0
		.amdhsa_user_sgpr_kernarg_segment_ptr 1
		.amdhsa_user_sgpr_dispatch_id 0
		.amdhsa_user_sgpr_private_segment_size 0
		.amdhsa_wavefront_size32 1
		.amdhsa_uses_dynamic_stack 0
		.amdhsa_enable_private_segment 0
		.amdhsa_system_sgpr_workgroup_id_x 1
		.amdhsa_system_sgpr_workgroup_id_y 1
		.amdhsa_system_sgpr_workgroup_id_z 1
		.amdhsa_system_sgpr_workgroup_info 0
		.amdhsa_system_vgpr_workitem_id 1
		.amdhsa_next_free_vgpr 5
		.amdhsa_next_free_sgpr 16
		.amdhsa_reserve_vcc 1
		.amdhsa_float_round_mode_32 0
		.amdhsa_float_round_mode_16_64 0
		.amdhsa_float_denorm_mode_32 3
		.amdhsa_float_denorm_mode_16_64 3
		.amdhsa_dx10_clamp 1
		.amdhsa_ieee_mode 1
		.amdhsa_fp16_overflow 0
		.amdhsa_workgroup_processor_mode 1
		.amdhsa_memory_ordered 1
		.amdhsa_forward_progress 0
		.amdhsa_shared_vgpr_count 0
		.amdhsa_exception_fp_ieee_invalid_op 0
		.amdhsa_exception_fp_denorm_src 0
		.amdhsa_exception_fp_ieee_div_zero 0
		.amdhsa_exception_fp_ieee_overflow 0
		.amdhsa_exception_fp_ieee_underflow 0
		.amdhsa_exception_fp_ieee_inexact 0
		.amdhsa_exception_int_div_zero 0
	.end_amdhsa_kernel
	.section	.text._ZN9rocsolver6v33100L13gels_set_zeroI19rocblas_complex_numIfEPS3_EEviiiT0_iilPKi,"axG",@progbits,_ZN9rocsolver6v33100L13gels_set_zeroI19rocblas_complex_numIfEPS3_EEviiiT0_iilPKi,comdat
.Lfunc_end59:
	.size	_ZN9rocsolver6v33100L13gels_set_zeroI19rocblas_complex_numIfEPS3_EEviiiT0_iilPKi, .Lfunc_end59-_ZN9rocsolver6v33100L13gels_set_zeroI19rocblas_complex_numIfEPS3_EEviiiT0_iilPKi
                                        ; -- End function
	.section	.AMDGPU.csdata,"",@progbits
; Kernel info:
; codeLenInByte = 300
; NumSgprs: 18
; NumVgprs: 5
; ScratchSize: 0
; MemoryBound: 0
; FloatMode: 240
; IeeeMode: 1
; LDSByteSize: 0 bytes/workgroup (compile time only)
; SGPRBlocks: 2
; VGPRBlocks: 0
; NumSGPRsForWavesPerEU: 18
; NumVGPRsForWavesPerEU: 5
; Occupancy: 16
; WaveLimiterHint : 0
; COMPUTE_PGM_RSRC2:SCRATCH_EN: 0
; COMPUTE_PGM_RSRC2:USER_SGPR: 13
; COMPUTE_PGM_RSRC2:TRAP_HANDLER: 0
; COMPUTE_PGM_RSRC2:TGID_X_EN: 1
; COMPUTE_PGM_RSRC2:TGID_Y_EN: 1
; COMPUTE_PGM_RSRC2:TGID_Z_EN: 1
; COMPUTE_PGM_RSRC2:TIDIG_COMP_CNT: 1
	.section	.text._ZN9rocsolver6v33100L6iota_nI19rocblas_complex_numIdEEEvPT_jS4_,"axG",@progbits,_ZN9rocsolver6v33100L6iota_nI19rocblas_complex_numIdEEEvPT_jS4_,comdat
	.globl	_ZN9rocsolver6v33100L6iota_nI19rocblas_complex_numIdEEEvPT_jS4_ ; -- Begin function _ZN9rocsolver6v33100L6iota_nI19rocblas_complex_numIdEEEvPT_jS4_
	.p2align	8
	.type	_ZN9rocsolver6v33100L6iota_nI19rocblas_complex_numIdEEEvPT_jS4_,@function
_ZN9rocsolver6v33100L6iota_nI19rocblas_complex_numIdEEEvPT_jS4_: ; @_ZN9rocsolver6v33100L6iota_nI19rocblas_complex_numIdEEEvPT_jS4_
; %bb.0:
	s_load_b32 s2, s[0:1], 0x8
	s_waitcnt lgkmcnt(0)
	v_cmp_gt_u32_e32 vcc_lo, s2, v0
	s_and_saveexec_b32 s2, vcc_lo
	s_cbranch_execz .LBB60_2
; %bb.1:
	v_cvt_f64_u32_e32 v[1:2], v0
	s_clause 0x1
	s_load_b128 s[4:7], s[0:1], 0x10
	s_load_b64 s[0:1], s[0:1], 0x0
	v_lshlrev_b32_e32 v0, 4, v0
	s_waitcnt lgkmcnt(0)
	v_add_f64 v[3:4], s[6:7], 0
	s_delay_alu instid0(VALU_DEP_3)
	v_add_f64 v[1:2], s[4:5], v[1:2]
	global_store_b128 v0, v[1:4], s[0:1]
.LBB60_2:
	s_nop 0
	s_sendmsg sendmsg(MSG_DEALLOC_VGPRS)
	s_endpgm
	.section	.rodata,"a",@progbits
	.p2align	6, 0x0
	.amdhsa_kernel _ZN9rocsolver6v33100L6iota_nI19rocblas_complex_numIdEEEvPT_jS4_
		.amdhsa_group_segment_fixed_size 0
		.amdhsa_private_segment_fixed_size 0
		.amdhsa_kernarg_size 32
		.amdhsa_user_sgpr_count 15
		.amdhsa_user_sgpr_dispatch_ptr 0
		.amdhsa_user_sgpr_queue_ptr 0
		.amdhsa_user_sgpr_kernarg_segment_ptr 1
		.amdhsa_user_sgpr_dispatch_id 0
		.amdhsa_user_sgpr_private_segment_size 0
		.amdhsa_wavefront_size32 1
		.amdhsa_uses_dynamic_stack 0
		.amdhsa_enable_private_segment 0
		.amdhsa_system_sgpr_workgroup_id_x 1
		.amdhsa_system_sgpr_workgroup_id_y 0
		.amdhsa_system_sgpr_workgroup_id_z 0
		.amdhsa_system_sgpr_workgroup_info 0
		.amdhsa_system_vgpr_workitem_id 0
		.amdhsa_next_free_vgpr 5
		.amdhsa_next_free_sgpr 8
		.amdhsa_reserve_vcc 1
		.amdhsa_float_round_mode_32 0
		.amdhsa_float_round_mode_16_64 0
		.amdhsa_float_denorm_mode_32 3
		.amdhsa_float_denorm_mode_16_64 3
		.amdhsa_dx10_clamp 1
		.amdhsa_ieee_mode 1
		.amdhsa_fp16_overflow 0
		.amdhsa_workgroup_processor_mode 1
		.amdhsa_memory_ordered 1
		.amdhsa_forward_progress 0
		.amdhsa_shared_vgpr_count 0
		.amdhsa_exception_fp_ieee_invalid_op 0
		.amdhsa_exception_fp_denorm_src 0
		.amdhsa_exception_fp_ieee_div_zero 0
		.amdhsa_exception_fp_ieee_overflow 0
		.amdhsa_exception_fp_ieee_underflow 0
		.amdhsa_exception_fp_ieee_inexact 0
		.amdhsa_exception_int_div_zero 0
	.end_amdhsa_kernel
	.section	.text._ZN9rocsolver6v33100L6iota_nI19rocblas_complex_numIdEEEvPT_jS4_,"axG",@progbits,_ZN9rocsolver6v33100L6iota_nI19rocblas_complex_numIdEEEvPT_jS4_,comdat
.Lfunc_end60:
	.size	_ZN9rocsolver6v33100L6iota_nI19rocblas_complex_numIdEEEvPT_jS4_, .Lfunc_end60-_ZN9rocsolver6v33100L6iota_nI19rocblas_complex_numIdEEEvPT_jS4_
                                        ; -- End function
	.section	.AMDGPU.csdata,"",@progbits
; Kernel info:
; codeLenInByte = 96
; NumSgprs: 10
; NumVgprs: 5
; ScratchSize: 0
; MemoryBound: 0
; FloatMode: 240
; IeeeMode: 1
; LDSByteSize: 0 bytes/workgroup (compile time only)
; SGPRBlocks: 1
; VGPRBlocks: 0
; NumSGPRsForWavesPerEU: 10
; NumVGPRsForWavesPerEU: 5
; Occupancy: 16
; WaveLimiterHint : 0
; COMPUTE_PGM_RSRC2:SCRATCH_EN: 0
; COMPUTE_PGM_RSRC2:USER_SGPR: 15
; COMPUTE_PGM_RSRC2:TRAP_HANDLER: 0
; COMPUTE_PGM_RSRC2:TGID_X_EN: 1
; COMPUTE_PGM_RSRC2:TGID_Y_EN: 0
; COMPUTE_PGM_RSRC2:TGID_Z_EN: 0
; COMPUTE_PGM_RSRC2:TIDIG_COMP_CNT: 0
	.section	.text._ZN9rocsolver6v33100L8set_zeroI19rocblas_complex_numIdEPS3_EEviiT0_iil13rocblas_fill_,"axG",@progbits,_ZN9rocsolver6v33100L8set_zeroI19rocblas_complex_numIdEPS3_EEviiT0_iil13rocblas_fill_,comdat
	.globl	_ZN9rocsolver6v33100L8set_zeroI19rocblas_complex_numIdEPS3_EEviiT0_iil13rocblas_fill_ ; -- Begin function _ZN9rocsolver6v33100L8set_zeroI19rocblas_complex_numIdEPS3_EEviiT0_iil13rocblas_fill_
	.p2align	8
	.type	_ZN9rocsolver6v33100L8set_zeroI19rocblas_complex_numIdEPS3_EEviiT0_iil13rocblas_fill_,@function
_ZN9rocsolver6v33100L8set_zeroI19rocblas_complex_numIdEPS3_EEviiT0_iil13rocblas_fill_: ; @_ZN9rocsolver6v33100L8set_zeroI19rocblas_complex_numIdEPS3_EEviiT0_iil13rocblas_fill_
; %bb.0:
	s_clause 0x1
	s_load_b32 s4, s[0:1], 0x34
	s_load_b64 s[2:3], s[0:1], 0x0
	v_and_b32_e32 v2, 0x3ff, v0
	v_bfe_u32 v3, v0, 10, 10
	s_waitcnt lgkmcnt(0)
	s_lshr_b32 s5, s4, 16
	s_and_b32 s4, s4, 0xffff
	s_delay_alu instid0(VALU_DEP_1) | instid1(SALU_CYCLE_1)
	v_mad_u64_u32 v[0:1], null, s13, s4, v[2:3]
	v_mad_u64_u32 v[1:2], null, s14, s5, v[3:4]
	s_delay_alu instid0(VALU_DEP_2) | instskip(NEXT) | instid1(VALU_DEP_2)
	v_cmp_gt_u32_e32 vcc_lo, s2, v0
	v_cmp_gt_u32_e64 s2, s3, v1
	s_delay_alu instid0(VALU_DEP_1) | instskip(NEXT) | instid1(SALU_CYCLE_1)
	s_and_b32 s2, vcc_lo, s2
	s_and_saveexec_b32 s3, s2
	s_cbranch_execz .LBB61_12
; %bb.1:
	s_load_b32 s3, s[0:1], 0x20
	s_waitcnt lgkmcnt(0)
	s_cmpk_lt_i32 s3, 0x7a
	s_cbranch_scc1 .LBB61_4
; %bb.2:
	s_cmpk_gt_i32 s3, 0x7a
	s_cbranch_scc0 .LBB61_5
; %bb.3:
	s_cmpk_eq_i32 s3, 0x7b
	s_cselect_b32 s2, -1, 0
	s_cbranch_execz .LBB61_6
	s_branch .LBB61_7
.LBB61_4:
	s_mov_b32 s2, 0
	s_cbranch_execnz .LBB61_8
	s_branch .LBB61_10
.LBB61_5:
	s_mov_b32 s2, 0
.LBB61_6:
	v_cmp_gt_u32_e32 vcc_lo, v1, v0
	s_and_not1_b32 s2, s2, exec_lo
	s_and_b32 s4, vcc_lo, exec_lo
	s_delay_alu instid0(SALU_CYCLE_1)
	s_or_b32 s2, s2, s4
.LBB61_7:
	s_branch .LBB61_10
.LBB61_8:
	s_cmpk_eq_i32 s3, 0x79
	s_cbranch_scc0 .LBB61_10
; %bb.9:
	v_cmp_gt_u32_e32 vcc_lo, v0, v1
	s_and_not1_b32 s2, s2, exec_lo
	s_and_b32 s3, vcc_lo, exec_lo
	s_delay_alu instid0(SALU_CYCLE_1)
	s_or_b32 s2, s2, s3
.LBB61_10:
	s_delay_alu instid0(SALU_CYCLE_1)
	s_and_b32 exec_lo, exec_lo, s2
	s_cbranch_execz .LBB61_12
; %bb.11:
	s_clause 0x1
	s_load_b64 s[4:5], s[0:1], 0x18
	s_load_b128 s[0:3], s[0:1], 0x8
	s_waitcnt lgkmcnt(0)
	s_mul_i32 s5, s15, s5
	v_mad_u64_u32 v[2:3], null, v1, s3, v[0:1]
	s_mul_hi_u32 s6, s15, s4
	v_mov_b32_e32 v3, 0
	s_mul_i32 s4, s15, s4
	s_add_i32 s5, s6, s5
	s_ashr_i32 s3, s2, 31
	s_lshl_b64 s[4:5], s[4:5], 4
	s_delay_alu instid0(VALU_DEP_2)
	v_lshlrev_b64 v[0:1], 4, v[2:3]
	s_add_u32 s4, s0, s4
	s_addc_u32 s5, s1, s5
	s_lshl_b64 s[0:1], s[2:3], 4
	v_mov_b32_e32 v4, v3
	s_add_u32 s0, s4, s0
	s_addc_u32 s1, s5, s1
	v_add_co_u32 v0, vcc_lo, s0, v0
	v_mov_b32_e32 v2, v3
	v_add_co_ci_u32_e32 v1, vcc_lo, s1, v1, vcc_lo
	v_mov_b32_e32 v5, v3
	global_store_b128 v[0:1], v[2:5], off
.LBB61_12:
	s_nop 0
	s_sendmsg sendmsg(MSG_DEALLOC_VGPRS)
	s_endpgm
	.section	.rodata,"a",@progbits
	.p2align	6, 0x0
	.amdhsa_kernel _ZN9rocsolver6v33100L8set_zeroI19rocblas_complex_numIdEPS3_EEviiT0_iil13rocblas_fill_
		.amdhsa_group_segment_fixed_size 0
		.amdhsa_private_segment_fixed_size 0
		.amdhsa_kernarg_size 296
		.amdhsa_user_sgpr_count 13
		.amdhsa_user_sgpr_dispatch_ptr 0
		.amdhsa_user_sgpr_queue_ptr 0
		.amdhsa_user_sgpr_kernarg_segment_ptr 1
		.amdhsa_user_sgpr_dispatch_id 0
		.amdhsa_user_sgpr_private_segment_size 0
		.amdhsa_wavefront_size32 1
		.amdhsa_uses_dynamic_stack 0
		.amdhsa_enable_private_segment 0
		.amdhsa_system_sgpr_workgroup_id_x 1
		.amdhsa_system_sgpr_workgroup_id_y 1
		.amdhsa_system_sgpr_workgroup_id_z 1
		.amdhsa_system_sgpr_workgroup_info 0
		.amdhsa_system_vgpr_workitem_id 1
		.amdhsa_next_free_vgpr 6
		.amdhsa_next_free_sgpr 16
		.amdhsa_reserve_vcc 1
		.amdhsa_float_round_mode_32 0
		.amdhsa_float_round_mode_16_64 0
		.amdhsa_float_denorm_mode_32 3
		.amdhsa_float_denorm_mode_16_64 3
		.amdhsa_dx10_clamp 1
		.amdhsa_ieee_mode 1
		.amdhsa_fp16_overflow 0
		.amdhsa_workgroup_processor_mode 1
		.amdhsa_memory_ordered 1
		.amdhsa_forward_progress 0
		.amdhsa_shared_vgpr_count 0
		.amdhsa_exception_fp_ieee_invalid_op 0
		.amdhsa_exception_fp_denorm_src 0
		.amdhsa_exception_fp_ieee_div_zero 0
		.amdhsa_exception_fp_ieee_overflow 0
		.amdhsa_exception_fp_ieee_underflow 0
		.amdhsa_exception_fp_ieee_inexact 0
		.amdhsa_exception_int_div_zero 0
	.end_amdhsa_kernel
	.section	.text._ZN9rocsolver6v33100L8set_zeroI19rocblas_complex_numIdEPS3_EEviiT0_iil13rocblas_fill_,"axG",@progbits,_ZN9rocsolver6v33100L8set_zeroI19rocblas_complex_numIdEPS3_EEviiT0_iil13rocblas_fill_,comdat
.Lfunc_end61:
	.size	_ZN9rocsolver6v33100L8set_zeroI19rocblas_complex_numIdEPS3_EEviiT0_iil13rocblas_fill_, .Lfunc_end61-_ZN9rocsolver6v33100L8set_zeroI19rocblas_complex_numIdEPS3_EEviiT0_iil13rocblas_fill_
                                        ; -- End function
	.section	.AMDGPU.csdata,"",@progbits
; Kernel info:
; codeLenInByte = 364
; NumSgprs: 18
; NumVgprs: 6
; ScratchSize: 0
; MemoryBound: 0
; FloatMode: 240
; IeeeMode: 1
; LDSByteSize: 0 bytes/workgroup (compile time only)
; SGPRBlocks: 2
; VGPRBlocks: 0
; NumSGPRsForWavesPerEU: 18
; NumVGPRsForWavesPerEU: 6
; Occupancy: 16
; WaveLimiterHint : 0
; COMPUTE_PGM_RSRC2:SCRATCH_EN: 0
; COMPUTE_PGM_RSRC2:USER_SGPR: 13
; COMPUTE_PGM_RSRC2:TRAP_HANDLER: 0
; COMPUTE_PGM_RSRC2:TGID_X_EN: 1
; COMPUTE_PGM_RSRC2:TGID_Y_EN: 1
; COMPUTE_PGM_RSRC2:TGID_Z_EN: 1
; COMPUTE_PGM_RSRC2:TIDIG_COMP_CNT: 1
	.section	.text._ZN9rocsolver6v33100L18geqr2_kernel_smallILi256E19rocblas_complex_numIdEidPS3_EEvT1_S5_T3_lS5_lPT2_lPT0_l,"axG",@progbits,_ZN9rocsolver6v33100L18geqr2_kernel_smallILi256E19rocblas_complex_numIdEidPS3_EEvT1_S5_T3_lS5_lPT2_lPT0_l,comdat
	.globl	_ZN9rocsolver6v33100L18geqr2_kernel_smallILi256E19rocblas_complex_numIdEidPS3_EEvT1_S5_T3_lS5_lPT2_lPT0_l ; -- Begin function _ZN9rocsolver6v33100L18geqr2_kernel_smallILi256E19rocblas_complex_numIdEidPS3_EEvT1_S5_T3_lS5_lPT2_lPT0_l
	.p2align	8
	.type	_ZN9rocsolver6v33100L18geqr2_kernel_smallILi256E19rocblas_complex_numIdEidPS3_EEvT1_S5_T3_lS5_lPT2_lPT0_l,@function
_ZN9rocsolver6v33100L18geqr2_kernel_smallILi256E19rocblas_complex_numIdEidPS3_EEvT1_S5_T3_lS5_lPT2_lPT0_l: ; @_ZN9rocsolver6v33100L18geqr2_kernel_smallILi256E19rocblas_complex_numIdEidPS3_EEvT1_S5_T3_lS5_lPT2_lPT0_l
; %bb.0:
	s_clause 0x4
	s_load_b256 s[4:11], s[0:1], 0x20
	s_load_b64 s[12:13], s[0:1], 0x0
	s_load_b128 s[20:23], s[0:1], 0x8
	s_load_b32 s18, s[0:1], 0x18
	s_load_b64 s[2:3], s[0:1], 0x40
	s_ashr_i32 s14, s15, 31
	v_and_b32_e32 v5, 0x7f, v0
	v_lshrrev_b32_e32 v15, 7, v0
	s_delay_alu instid0(VALU_DEP_2)
	v_lshlrev_b32_e32 v16, 4, v5
	s_waitcnt lgkmcnt(0)
	s_mul_i32 s0, s15, s5
	s_mul_hi_u32 s1, s15, s4
	s_mul_i32 s5, s14, s4
	s_add_i32 s1, s1, s0
	s_mul_i32 s0, s15, s4
	s_add_i32 s1, s1, s5
	s_delay_alu instid0(SALU_CYCLE_1) | instskip(SKIP_4) | instid1(SALU_CYCLE_1)
	s_lshl_b64 s[4:5], s[0:1], 4
	v_cmp_gt_i32_e64 s0, s12, v5
	s_add_u32 s1, s20, s4
	s_addc_u32 s17, s21, s5
	s_lshl_b64 s[4:5], s[22:23], 4
	s_add_u32 s16, s1, s4
	s_addc_u32 s17, s17, s5
	s_and_saveexec_b32 s4, s0
	s_cbranch_execz .LBB62_6
; %bb.1:
	v_lshrrev_b32_e32 v4, 7, v0
	v_mov_b32_e32 v7, v5
	s_mov_b32 s5, 0
	s_lshl_b32 s19, s12, 5
	s_lshl_b32 s20, s18, 1
	v_mul_lo_u32 v1, s12, v4
	v_cmp_gt_i32_e32 vcc_lo, s13, v4
	s_delay_alu instid0(VALU_DEP_2) | instskip(SKIP_1) | instid1(VALU_DEP_2)
	v_lshlrev_b32_e32 v3, 4, v1
	v_mad_u64_u32 v[1:2], null, s18, v4, v[5:6]
	v_add3_u32 v6, v3, v16, 0
	s_set_inst_prefetch_distance 0x1
	s_branch .LBB62_3
	.p2align	6
.LBB62_2:                               ;   in Loop: Header=BB62_3 Depth=1
	s_or_b32 exec_lo, exec_lo, s21
	v_add_nc_u32_e32 v7, 0x80, v7
	v_add_nc_u32_e32 v6, 0x800, v6
	;; [unrolled: 1-line block ×3, first 2 shown]
	s_delay_alu instid0(VALU_DEP_3) | instskip(NEXT) | instid1(VALU_DEP_1)
	v_cmp_le_i32_e64 s1, s12, v7
	s_or_b32 s5, s1, s5
	s_delay_alu instid0(SALU_CYCLE_1)
	s_and_not1_b32 exec_lo, exec_lo, s5
	s_cbranch_execz .LBB62_6
.LBB62_3:                               ; =>This Loop Header: Depth=1
                                        ;     Child Loop BB62_5 Depth 2
	s_and_saveexec_b32 s21, vcc_lo
	s_cbranch_execz .LBB62_2
; %bb.4:                                ;   in Loop: Header=BB62_3 Depth=1
	s_delay_alu instid0(VALU_DEP_2)
	v_dual_mov_b32 v2, v1 :: v_dual_mov_b32 v9, v4
	v_mov_b32_e32 v8, v6
	s_mov_b32 s22, 0
	.p2align	6
.LBB62_5:                               ;   Parent Loop BB62_3 Depth=1
                                        ; =>  This Inner Loop Header: Depth=2
	s_delay_alu instid0(VALU_DEP_2) | instskip(NEXT) | instid1(VALU_DEP_3)
	v_ashrrev_i32_e32 v3, 31, v2
	v_add_nc_u32_e32 v9, 2, v9
	s_delay_alu instid0(VALU_DEP_2) | instskip(SKIP_1) | instid1(VALU_DEP_2)
	v_lshlrev_b64 v[10:11], 4, v[2:3]
	v_add_nc_u32_e32 v2, s20, v2
	v_add_co_u32 v10, s1, s16, v10
	s_delay_alu instid0(VALU_DEP_1)
	v_add_co_ci_u32_e64 v11, s1, s17, v11, s1
	v_cmp_le_i32_e64 s1, s13, v9
	global_load_b128 v[10:13], v[10:11], off
	s_or_b32 s22, s1, s22
	s_waitcnt vmcnt(0)
	ds_store_2addr_b64 v8, v[10:11], v[12:13] offset1:1
	v_add_nc_u32_e32 v8, s19, v8
	s_and_not1_b32 exec_lo, exec_lo, s22
	s_cbranch_execnz .LBB62_5
	s_branch .LBB62_2
.LBB62_6:
	s_set_inst_prefetch_distance 0x2
	s_or_b32 exec_lo, exec_lo, s4
	s_min_i32 s19, s13, s12
	s_waitcnt lgkmcnt(0)
	s_cmp_lt_i32 s19, 1
	s_barrier
	buffer_gl0_inv
	s_cbranch_scc1 .LBB62_43
; %bb.7:
	v_mbcnt_lo_u32_b32 v1, -1, 0
	s_mul_i32 s1, s15, s9
	s_mul_hi_u32 s4, s15, s8
	s_mul_i32 s5, s14, s8
	s_add_i32 s1, s4, s1
	v_cmp_ne_u32_e32 vcc_lo, 31, v1
	s_mul_i32 s4, s15, s8
	s_add_i32 s5, s1, s5
	s_mul_i32 s1, s15, s3
	s_lshl_b64 s[4:5], s[4:5], 3
	v_add_co_ci_u32_e32 v2, vcc_lo, 0, v1, vcc_lo
	v_cmp_gt_u32_e32 vcc_lo, 30, v1
	s_mul_hi_u32 s3, s15, s2
	s_add_u32 s20, s6, s4
	s_addc_u32 s21, s7, s5
	s_add_i32 s1, s3, s1
	v_cndmask_b32_e64 v3, 0, 1, vcc_lo
	v_cmp_gt_u32_e32 vcc_lo, 28, v1
	s_mul_i32 s3, s14, s2
	s_mul_i32 s2, s15, s2
	s_add_i32 s3, s1, s3
	s_mul_i32 s1, s13, s12
	v_cndmask_b32_e64 v4, 0, 1, vcc_lo
	v_cmp_gt_u32_e32 vcc_lo, 24, v1
	s_lshl_b64 s[2:3], s[2:3], 4
	v_lshlrev_b32_e32 v17, 2, v2
	v_lshlrev_b32_e32 v2, 1, v3
	;; [unrolled: 1-line block ×3, first 2 shown]
	v_cndmask_b32_e64 v6, 0, 1, vcc_lo
	v_cmp_gt_u32_e32 vcc_lo, 16, v1
	s_add_u32 s22, s10, s2
	s_addc_u32 s23, s11, s3
	s_lshl_b32 s1, s1, 4
	v_lshlrev_b32_e32 v4, 3, v6
	v_cndmask_b32_e64 v7, 0, 1, vcc_lo
	s_add_i32 s24, s1, 0
	s_lshl_b32 s1, s13, 4
	v_add_lshl_u32 v18, v2, v1, 2
	v_add_lshl_u32 v19, v3, v1, 2
	v_lshlrev_b32_e32 v6, 4, v7
	v_add_lshl_u32 v20, v4, v1, 2
	s_add_i32 s25, s24, s1
	s_cmp_eq_u64 s[6:7], 0
	v_and_b32_e32 v7, 31, v0
	v_add_lshl_u32 v21, v6, v1, 2
	v_mov_b32_e32 v6, 0
	v_mad_u64_u32 v[1:2], null, s12, v0, s[12:13]
	v_lshrrev_b32_e32 v3, 1, v0
	v_lshlrev_b32_e32 v2, 4, v0
	s_cselect_b32 s26, -1, 0
	s_cmp_lg_u64 s[6:7], 0
	v_cmp_eq_u32_e64 s1, 0, v7
	s_cselect_b32 s27, -1, 0
	s_lshl_b32 s28, s12, 4
	v_cmp_eq_u32_e64 s2, 0, v0
	v_add3_u32 v22, v2, 0, 16
	v_lshl_add_u32 v23, v1, 4, 0
	v_add3_u32 v24, 0, s28, v2
	v_add_nc_u32_e32 v25, s25, v3
	s_mov_b32 s9, 0
	s_add_i32 s29, s28, 16
	s_lshl_b32 s30, s12, 12
	s_mov_b32 s31, 0
	s_mov_b32 s8, s9
	s_branch .LBB62_9
.LBB62_8:                               ;   in Loop: Header=BB62_9 Depth=1
	s_set_inst_prefetch_distance 0x2
	s_or_b32 exec_lo, exec_lo, s4
	v_add_nc_u32_e32 v22, s29, v22
	v_add_nc_u32_e32 v23, s29, v23
	;; [unrolled: 1-line block ×3, first 2 shown]
	s_add_i32 s8, s8, 1
	s_add_i32 s31, s31, s29
	s_cmp_eq_u32 s8, s19
	s_waitcnt lgkmcnt(0)
	s_barrier
	buffer_gl0_inv
	s_cbranch_scc1 .LBB62_43
.LBB62_9:                               ; =>This Loop Header: Depth=1
                                        ;     Child Loop BB62_11 Depth 2
                                        ;     Child Loop BB62_30 Depth 2
                                        ;     Child Loop BB62_34 Depth 2
                                        ;       Child Loop BB62_36 Depth 3
                                        ;     Child Loop BB62_40 Depth 2
                                        ;       Child Loop BB62_42 Depth 3
	v_mov_b32_e32 v1, 0
	v_mov_b32_e32 v2, 0
	s_sub_i32 s33, s12, s8
	s_delay_alu instid0(SALU_CYCLE_1) | instskip(NEXT) | instid1(SALU_CYCLE_1)
	s_add_i32 s35, s33, -1
	v_cmp_gt_i32_e64 s3, s35, v0
	s_delay_alu instid0(VALU_DEP_2) | instskip(NEXT) | instid1(VALU_DEP_2)
	v_dual_mov_b32 v4, v2 :: v_dual_mov_b32 v3, v1
	s_and_saveexec_b32 s4, s3
	s_cbranch_execz .LBB62_13
; %bb.10:                               ;   in Loop: Header=BB62_9 Depth=1
	v_dual_mov_b32 v1, 0 :: v_dual_mov_b32 v8, v0
	v_dual_mov_b32 v2, 0 :: v_dual_mov_b32 v7, v22
	s_mov_b32 s5, 0
	s_delay_alu instid0(VALU_DEP_1)
	v_dual_mov_b32 v4, v2 :: v_dual_mov_b32 v3, v1
	.p2align	6
.LBB62_11:                              ;   Parent Loop BB62_9 Depth=1
                                        ; =>  This Inner Loop Header: Depth=2
	ds_load_2addr_b64 v[9:12], v7 offset1:1
	v_add_nc_u32_e32 v8, 0x100, v8
	v_add_nc_u32_e32 v7, 0x1000, v7
	s_delay_alu instid0(VALU_DEP_2) | instskip(SKIP_4) | instid1(VALU_DEP_2)
	v_cmp_le_i32_e32 vcc_lo, s35, v8
	s_or_b32 s5, vcc_lo, s5
	s_waitcnt lgkmcnt(0)
	v_mul_f64 v[13:14], v[11:12], v[11:12]
	v_mul_f64 v[26:27], v[9:10], v[11:12]
	v_fma_f64 v[13:14], v[9:10], v[9:10], v[13:14]
	s_delay_alu instid0(VALU_DEP_2) | instskip(NEXT) | instid1(VALU_DEP_2)
	v_fma_f64 v[9:10], v[9:10], v[11:12], -v[26:27]
	v_add_f64 v[3:4], v[3:4], v[13:14]
	s_delay_alu instid0(VALU_DEP_2)
	v_add_f64 v[1:2], v[1:2], v[9:10]
	s_and_not1_b32 exec_lo, exec_lo, s5
	s_cbranch_execnz .LBB62_11
; %bb.12:                               ;   in Loop: Header=BB62_9 Depth=1
	s_or_b32 exec_lo, exec_lo, s5
.LBB62_13:                              ;   in Loop: Header=BB62_9 Depth=1
	s_delay_alu instid0(SALU_CYCLE_1)
	s_or_b32 exec_lo, exec_lo, s4
	ds_bpermute_b32 v7, v17, v3
	ds_bpermute_b32 v8, v17, v4
	s_waitcnt lgkmcnt(0)
	v_add_f64 v[3:4], v[3:4], v[7:8]
	ds_bpermute_b32 v7, v17, v1
	ds_bpermute_b32 v8, v17, v2
	s_waitcnt lgkmcnt(0)
	v_add_f64 v[1:2], v[1:2], v[7:8]
	;; [unrolled: 4-line block ×9, first 2 shown]
	ds_bpermute_b32 v7, v21, v3
	ds_bpermute_b32 v8, v21, v4
	s_and_saveexec_b32 s4, s1
	s_cbranch_execz .LBB62_15
; %bb.14:                               ;   in Loop: Header=BB62_9 Depth=1
	s_waitcnt lgkmcnt(0)
	v_add_f64 v[3:4], v[3:4], v[7:8]
	ds_store_2addr_b64 v25, v[1:2], v[3:4] offset0:2 offset1:3
.LBB62_15:                              ;   in Loop: Header=BB62_9 Depth=1
	s_or_b32 exec_lo, exec_lo, s4
	s_lshl_b32 s4, s8, 4
	s_mul_i32 s5, s8, s12
	s_add_i32 s34, s4, 0
	s_lshl_b32 s4, s5, 4
	s_waitcnt lgkmcnt(0)
	s_add_i32 s34, s34, s4
	s_barrier
	buffer_gl0_inv
	s_and_saveexec_b32 s36, s2
	s_cbranch_execz .LBB62_28
; %bb.16:                               ;   in Loop: Header=BB62_9 Depth=1
	v_mov_b32_e32 v11, s25
	s_mov_b32 s39, 0
	s_mov_b32 s37, 0
	s_mov_b32 s38, exec_lo
                                        ; implicit-def: $sgpr10_sgpr11
                                        ; implicit-def: $sgpr14_sgpr15
                                        ; implicit-def: $sgpr4_sgpr5
                                        ; implicit-def: $sgpr6_sgpr7
	ds_load_2addr_b64 v[7:10], v11 offset0:4 offset1:6
	s_waitcnt lgkmcnt(0)
	v_add_f64 v[1:2], v[1:2], v[7:8]
	s_delay_alu instid0(VALU_DEP_1) | instskip(SKIP_3) | instid1(VALU_DEP_1)
	v_add_f64 v[7:8], v[1:2], v[9:10]
	ds_load_2addr_b64 v[1:4], v11 offset0:8 offset1:10
	s_waitcnt lgkmcnt(0)
	v_add_f64 v[1:2], v[7:8], v[1:2]
	v_add_f64 v[7:8], v[1:2], v[3:4]
	ds_load_2addr_b64 v[1:4], v11 offset0:12 offset1:14
	s_waitcnt lgkmcnt(0)
	v_add_f64 v[1:2], v[7:8], v[1:2]
	v_mov_b32_e32 v7, s34
	s_delay_alu instid0(VALU_DEP_2)
	v_add_f64 v[1:2], v[1:2], v[3:4]
	ds_load_b64 v[3:4], v11 offset:128
	ds_load_b64 v[7:8], v7 offset:8
	s_waitcnt lgkmcnt(0)
	v_mul_f64 v[11:12], v[7:8], v[7:8]
	v_add_f64 v[13:14], v[1:2], v[3:4]
	s_delay_alu instid0(VALU_DEP_1) | instskip(NEXT) | instid1(VALU_DEP_1)
	v_max_f64 v[1:2], v[13:14], v[11:12]
	v_cmpx_nlt_f64_e32 0, v[1:2]
	s_xor_b32 s38, exec_lo, s38
                                        ; implicit-def: $vgpr1_vgpr2_vgpr3_vgpr4
	s_cbranch_execz .LBB62_21
; %bb.17:                               ;   in Loop: Header=BB62_9 Depth=1
	s_mov_b32 s4, s9
	s_mov_b32 s6, s9
	;; [unrolled: 1-line block ×4, first 2 shown]
	v_mov_b32_e32 v1, s4
	v_dual_mov_b32 v3, s6 :: v_dual_mov_b32 v4, s7
	v_dual_mov_b32 v7, s25 :: v_dual_mov_b32 v2, s5
	s_and_b32 vcc_lo, exec_lo, s27
	ds_store_2addr_b64 v7, v[1:2], v[3:4] offset1:1
	s_cbranch_vccz .LBB62_19
; %bb.18:                               ;   in Loop: Header=BB62_9 Depth=1
	v_mov_b32_e32 v1, s34
	s_mov_b32 s37, -1
	s_mov_b64 s[6:7], 1.0
	s_mov_b64 s[4:5], 0
	ds_load_b64 v[1:2], v1
	s_branch .LBB62_20
.LBB62_19:                              ;   in Loop: Header=BB62_9 Depth=1
                                        ; implicit-def: $sgpr4_sgpr5
                                        ; implicit-def: $sgpr6_sgpr7
                                        ; implicit-def: $vgpr1_vgpr2_vgpr3_vgpr4
.LBB62_20:                              ;   in Loop: Header=BB62_9 Depth=1
	s_mov_b64 s[14:15], 0
	s_mov_b64 s[10:11], 1.0
	s_and_b32 s37, s37, exec_lo
                                        ; implicit-def: $vgpr11_vgpr12
                                        ; implicit-def: $vgpr13_vgpr14
                                        ; implicit-def: $vgpr7_vgpr8
.LBB62_21:                              ;   in Loop: Header=BB62_9 Depth=1
	s_or_saveexec_b32 s38, s38
	v_dual_mov_b32 v10, s5 :: v_dual_mov_b32 v9, s4
	v_dual_mov_b32 v3, s6 :: v_dual_mov_b32 v4, s7
	s_xor_b32 exec_lo, exec_lo, s38
	s_cbranch_execz .LBB62_23
; %bb.22:                               ;   in Loop: Header=BB62_9 Depth=1
	s_waitcnt lgkmcnt(0)
	v_mov_b32_e32 v1, s34
	s_and_b32 s39, s26, exec_lo
	ds_load_b64 v[3:4], v1
	s_waitcnt lgkmcnt(0)
	v_fma_f64 v[1:2], v[3:4], v[3:4], v[11:12]
	s_delay_alu instid0(VALU_DEP_1) | instskip(NEXT) | instid1(VALU_DEP_1)
	v_add_f64 v[1:2], v[13:14], v[1:2]
	v_cmp_gt_f64_e32 vcc_lo, 0x10000000, v[1:2]
	v_cndmask_b32_e64 v9, 0, 1, vcc_lo
	s_delay_alu instid0(VALU_DEP_1) | instskip(NEXT) | instid1(VALU_DEP_1)
	v_lshlrev_b32_e32 v9, 8, v9
	v_ldexp_f64 v[1:2], v[1:2], v9
	s_delay_alu instid0(VALU_DEP_1) | instskip(SKIP_3) | instid1(VALU_DEP_1)
	v_rsq_f64_e32 v[9:10], v[1:2]
	s_waitcnt_depctr 0xfff
	v_mul_f64 v[13:14], v[1:2], v[9:10]
	v_mul_f64 v[9:10], v[9:10], 0.5
	v_fma_f64 v[26:27], -v[9:10], v[13:14], 0.5
	s_delay_alu instid0(VALU_DEP_1) | instskip(SKIP_1) | instid1(VALU_DEP_2)
	v_fma_f64 v[13:14], v[13:14], v[26:27], v[13:14]
	v_fma_f64 v[9:10], v[9:10], v[26:27], v[9:10]
	v_fma_f64 v[26:27], -v[13:14], v[13:14], v[1:2]
	s_delay_alu instid0(VALU_DEP_1) | instskip(NEXT) | instid1(VALU_DEP_1)
	v_fma_f64 v[13:14], v[26:27], v[9:10], v[13:14]
	v_fma_f64 v[26:27], -v[13:14], v[13:14], v[1:2]
	s_delay_alu instid0(VALU_DEP_1) | instskip(SKIP_2) | instid1(VALU_DEP_2)
	v_fma_f64 v[9:10], v[26:27], v[9:10], v[13:14]
	v_cndmask_b32_e64 v13, 0, 0xffffff80, vcc_lo
	v_cmp_class_f64_e64 vcc_lo, v[1:2], 0x260
	v_ldexp_f64 v[9:10], v[9:10], v13
	s_delay_alu instid0(VALU_DEP_1) | instskip(SKIP_1) | instid1(VALU_DEP_2)
	v_dual_cndmask_b32 v2, v10, v2 :: v_dual_cndmask_b32 v1, v9, v1
	v_cmp_le_f64_e32 vcc_lo, 0, v[3:4]
	v_xor_b32_e32 v9, 0x80000000, v2
	s_delay_alu instid0(VALU_DEP_1) | instskip(NEXT) | instid1(VALU_DEP_1)
	v_cndmask_b32_e32 v2, v2, v9, vcc_lo
	v_add_f64 v[9:10], v[3:4], -v[1:2]
	v_add_f64 v[13:14], v[1:2], -v[3:4]
	v_div_scale_f64 v[30:31], null, v[1:2], v[1:2], -v[7:8]
	s_delay_alu instid0(VALU_DEP_3) | instskip(NEXT) | instid1(VALU_DEP_3)
	v_fma_f64 v[11:12], v[9:10], v[9:10], v[11:12]
	v_div_scale_f64 v[28:29], null, v[1:2], v[1:2], v[13:14]
	s_delay_alu instid0(VALU_DEP_3) | instskip(NEXT) | instid1(VALU_DEP_2)
	v_rcp_f64_e32 v[38:39], v[30:31]
	v_div_scale_f64 v[3:4], null, v[11:12], v[11:12], v[9:10]
	v_div_scale_f64 v[26:27], null, v[11:12], v[11:12], -v[7:8]
	s_delay_alu instid0(VALU_DEP_3)
	v_rcp_f64_e32 v[36:37], v[28:29]
	s_waitcnt_depctr 0xfff
	v_fma_f64 v[46:47], -v[30:31], v[38:39], 1.0
	v_div_scale_f64 v[48:49], vcc_lo, v[9:10], v[11:12], v[9:10]
	v_rcp_f64_e32 v[32:33], v[3:4]
	v_rcp_f64_e32 v[34:35], v[26:27]
	s_delay_alu instid0(VALU_DEP_2)
	v_fma_f64 v[38:39], v[38:39], v[46:47], v[38:39]
	v_fma_f64 v[44:45], -v[28:29], v[36:37], 1.0
	s_waitcnt_depctr 0xfff
	v_fma_f64 v[40:41], -v[3:4], v[32:33], 1.0
	v_fma_f64 v[42:43], -v[26:27], v[34:35], 1.0
	;; [unrolled: 1-line block ×3, first 2 shown]
	v_fma_f64 v[36:37], v[36:37], v[44:45], v[36:37]
	s_delay_alu instid0(VALU_DEP_4) | instskip(NEXT) | instid1(VALU_DEP_4)
	v_fma_f64 v[32:33], v[32:33], v[40:41], v[32:33]
	v_fma_f64 v[34:35], v[34:35], v[42:43], v[34:35]
	s_delay_alu instid0(VALU_DEP_4) | instskip(NEXT) | instid1(VALU_DEP_4)
	v_fma_f64 v[38:39], v[38:39], v[46:47], v[38:39]
	v_fma_f64 v[44:45], -v[28:29], v[36:37], 1.0
	s_delay_alu instid0(VALU_DEP_4) | instskip(NEXT) | instid1(VALU_DEP_4)
	v_fma_f64 v[40:41], -v[3:4], v[32:33], 1.0
	v_fma_f64 v[42:43], -v[26:27], v[34:35], 1.0
	s_delay_alu instid0(VALU_DEP_3) | instskip(SKIP_1) | instid1(VALU_DEP_4)
	v_fma_f64 v[36:37], v[36:37], v[44:45], v[36:37]
	v_div_scale_f64 v[44:45], s6, -v[7:8], v[1:2], -v[7:8]
	v_fma_f64 v[32:33], v[32:33], v[40:41], v[32:33]
	v_div_scale_f64 v[40:41], s4, -v[7:8], v[11:12], -v[7:8]
	v_fma_f64 v[34:35], v[34:35], v[42:43], v[34:35]
	v_div_scale_f64 v[42:43], s5, v[13:14], v[1:2], v[13:14]
	v_mul_f64 v[54:55], v[44:45], v[38:39]
	v_mul_f64 v[46:47], v[48:49], v[32:33]
	s_delay_alu instid0(VALU_DEP_4) | instskip(NEXT) | instid1(VALU_DEP_4)
	v_mul_f64 v[50:51], v[40:41], v[34:35]
	v_mul_f64 v[52:53], v[42:43], v[36:37]
	s_delay_alu instid0(VALU_DEP_4) | instskip(NEXT) | instid1(VALU_DEP_4)
	v_fma_f64 v[30:31], -v[30:31], v[54:55], v[44:45]
	v_fma_f64 v[3:4], -v[3:4], v[46:47], v[48:49]
	s_delay_alu instid0(VALU_DEP_4) | instskip(NEXT) | instid1(VALU_DEP_4)
	v_fma_f64 v[26:27], -v[26:27], v[50:51], v[40:41]
	v_fma_f64 v[28:29], -v[28:29], v[52:53], v[42:43]
	s_delay_alu instid0(VALU_DEP_3) | instskip(SKIP_2) | instid1(VALU_DEP_3)
	v_div_fmas_f64 v[3:4], v[3:4], v[32:33], v[46:47]
	s_mov_b32 vcc_lo, s4
	s_and_not1_b32 s4, s37, exec_lo
	v_div_fmas_f64 v[26:27], v[26:27], v[34:35], v[50:51]
	s_mov_b32 vcc_lo, s5
	s_and_b32 s5, s27, exec_lo
	s_delay_alu instid0(VALU_DEP_3) | instskip(SKIP_3) | instid1(VALU_DEP_4)
	v_div_fmas_f64 v[28:29], v[28:29], v[36:37], v[52:53]
	s_mov_b32 vcc_lo, s6
	s_or_b32 s37, s4, s5
	v_div_fmas_f64 v[30:31], v[30:31], v[38:39], v[54:55]
	v_div_fixup_f64 v[3:4], v[3:4], v[11:12], v[9:10]
	s_delay_alu instid0(VALU_DEP_4) | instskip(NEXT) | instid1(VALU_DEP_4)
	v_div_fixup_f64 v[9:10], v[26:27], v[11:12], -v[7:8]
	v_div_fixup_f64 v[13:14], v[28:29], v[1:2], v[13:14]
	s_delay_alu instid0(VALU_DEP_4)
	v_div_fixup_f64 v[28:29], v[30:31], v[1:2], -v[7:8]
	v_mov_b32_e32 v7, s25
	ds_store_2addr_b64 v7, v[13:14], v[28:29] offset1:1
.LBB62_23:                              ;   in Loop: Header=BB62_9 Depth=1
	s_or_b32 exec_lo, exec_lo, s38
	s_and_saveexec_b32 s4, s37
	s_cbranch_execz .LBB62_25
; %bb.24:                               ;   in Loop: Header=BB62_9 Depth=1
	s_lshl_b64 s[6:7], s[8:9], 3
	s_delay_alu instid0(SALU_CYCLE_1)
	s_add_u32 s6, s20, s6
	s_addc_u32 s7, s21, s7
	s_or_b32 s39, s39, exec_lo
	s_waitcnt lgkmcnt(0)
	global_store_b64 v6, v[1:2], s[6:7]
	v_mov_b32_e32 v1, 0
	v_mov_b32_e32 v2, 0x3ff00000
.LBB62_25:                              ;   in Loop: Header=BB62_9 Depth=1
	s_or_b32 exec_lo, exec_lo, s4
	v_dual_mov_b32 v7, s14 :: v_dual_mov_b32 v8, s15
	v_dual_mov_b32 v12, s11 :: v_dual_mov_b32 v11, s10
	;; [unrolled: 1-line block ×3, first 2 shown]
	s_and_saveexec_b32 s4, s39
	s_cbranch_execz .LBB62_27
; %bb.26:                               ;   in Loop: Header=BB62_9 Depth=1
	v_dual_mov_b32 v7, v6 :: v_dual_mov_b32 v8, s34
	v_dual_mov_b32 v11, s25 :: v_dual_mov_b32 v14, v10
	v_mov_b32_e32 v13, v9
	s_waitcnt lgkmcnt(0)
	ds_store_2addr_b64 v8, v[1:2], v[6:7] offset1:1
	ds_load_b64 v[7:8], v11 offset:8
	v_dual_mov_b32 v12, v4 :: v_dual_mov_b32 v11, v3
.LBB62_27:                              ;   in Loop: Header=BB62_9 Depth=1
	s_or_b32 exec_lo, exec_lo, s4
	v_mov_b32_e32 v9, s25
	s_lshl_b64 s[4:5], s[8:9], 4
	s_waitcnt lgkmcnt(0)
	v_xor_b32_e32 v8, 0x80000000, v8
	s_add_u32 s4, s22, s4
	s_addc_u32 s5, s23, s5
	ds_load_2addr_b64 v[1:4], v9 offset1:1
	s_waitcnt lgkmcnt(0)
	global_store_b128 v6, v[1:4], s[4:5]
	ds_store_b64 v9, v[13:14] offset:24
	ds_store_2addr_b64 v9, v[7:8], v[11:12] offset0:1 offset1:2
.LBB62_28:                              ;   in Loop: Header=BB62_9 Depth=1
	s_or_b32 exec_lo, exec_lo, s36
	s_waitcnt lgkmcnt(0)
	s_waitcnt_vscnt null, 0x0
	s_barrier
	buffer_gl0_inv
	s_and_saveexec_b32 s4, s3
	s_cbranch_execz .LBB62_31
; %bb.29:                               ;   in Loop: Header=BB62_9 Depth=1
	v_mov_b32_e32 v1, v0
	s_mov_b32 s3, 0
	s_mov_b32 s5, 0
	.p2align	6
.LBB62_30:                              ;   Parent Loop BB62_9 Depth=1
                                        ; =>  This Inner Loop Header: Depth=2
	s_delay_alu instid0(VALU_DEP_1)
	v_dual_mov_b32 v2, s25 :: v_dual_add_nc_u32 v1, 0x100, v1
	v_add_nc_u32_e32 v4, s5, v22
	s_addk_i32 s5, 0x1000
	ds_load_2addr_b64 v[7:10], v2 offset0:2 offset1:3
	ds_load_2addr_b64 v[11:14], v4 offset1:1
	v_cmp_le_i32_e32 vcc_lo, s35, v1
	s_or_b32 s3, vcc_lo, s3
	s_waitcnt lgkmcnt(0)
	v_mul_f64 v[2:3], v[9:10], v[13:14]
	v_mul_f64 v[13:14], v[7:8], v[13:14]
	s_delay_alu instid0(VALU_DEP_2) | instskip(NEXT) | instid1(VALU_DEP_2)
	v_fma_f64 v[2:3], v[7:8], v[11:12], -v[2:3]
	v_fma_f64 v[7:8], v[9:10], v[11:12], v[13:14]
	ds_store_2addr_b64 v4, v[2:3], v[7:8] offset1:1
	s_and_not1_b32 exec_lo, exec_lo, s3
	s_cbranch_execnz .LBB62_30
.LBB62_31:                              ;   in Loop: Header=BB62_9 Depth=1
	s_or_b32 exec_lo, exec_lo, s4
	s_not_b32 s3, s8
	s_mov_b32 s4, exec_lo
	s_add_i32 s3, s3, s13
	s_waitcnt lgkmcnt(0)
	s_barrier
	buffer_gl0_inv
	v_cmpx_gt_i32_e64 s3, v0
	s_cbranch_execz .LBB62_37
; %bb.32:                               ;   in Loop: Header=BB62_9 Depth=1
	v_dual_mov_b32 v7, v23 :: v_dual_mov_b32 v8, v0
	s_cmp_gt_i32 s33, 0
	s_mov_b32 s5, 0
	s_cselect_b32 s6, -1, 0
	s_branch .LBB62_34
.LBB62_33:                              ;   in Loop: Header=BB62_34 Depth=2
	v_mov_b32_e32 v9, s25
	v_add_nc_u32_e32 v7, s30, v7
	ds_load_2addr_b64 v[9:12], v9 offset1:1
	s_waitcnt lgkmcnt(0)
	v_mul_f64 v[13:14], v[1:2], v[11:12]
	v_mul_f64 v[11:12], v[3:4], v[11:12]
	s_delay_alu instid0(VALU_DEP_2) | instskip(NEXT) | instid1(VALU_DEP_2)
	v_fma_f64 v[3:4], v[3:4], v[9:10], -v[13:14]
	v_fma_f64 v[1:2], v[1:2], v[9:10], v[11:12]
	v_lshl_add_u32 v9, v8, 4, s24
	v_add_nc_u32_e32 v8, 0x100, v8
	s_delay_alu instid0(VALU_DEP_1)
	v_cmp_le_i32_e32 vcc_lo, s3, v8
	s_or_b32 s5, vcc_lo, s5
	ds_store_2addr_b64 v9, v[3:4], v[1:2] offset1:1
	s_and_not1_b32 exec_lo, exec_lo, s5
	s_cbranch_execz .LBB62_37
.LBB62_34:                              ;   Parent Loop BB62_9 Depth=1
                                        ; =>  This Loop Header: Depth=2
                                        ;       Child Loop BB62_36 Depth 3
	v_mov_b32_e32 v1, 0
	v_mov_b32_e32 v2, 0
	s_and_not1_b32 vcc_lo, exec_lo, s6
	s_delay_alu instid0(VALU_DEP_1)
	v_dual_mov_b32 v4, v2 :: v_dual_mov_b32 v3, v1
	s_cbranch_vccnz .LBB62_33
; %bb.35:                               ;   in Loop: Header=BB62_34 Depth=2
	v_mov_b32_e32 v1, 0
	v_dual_mov_b32 v2, 0 :: v_dual_mov_b32 v9, v7
	s_mov_b32 s7, 0
	s_mov_b32 s10, s31
	s_delay_alu instid0(VALU_DEP_1)
	v_dual_mov_b32 v4, v2 :: v_dual_mov_b32 v3, v1
	.p2align	6
.LBB62_36:                              ;   Parent Loop BB62_9 Depth=1
                                        ;     Parent Loop BB62_34 Depth=2
                                        ; =>    This Inner Loop Header: Depth=3
	v_mov_b32_e32 v14, s10
	s_add_i32 s7, s7, 1
	s_add_i32 s10, s10, 16
	s_cmp_ge_i32 s7, s33
	ds_load_2addr_b64 v[10:13], v9 offset1:1
	ds_load_2addr_b64 v[26:29], v14 offset1:1
	v_add_nc_u32_e32 v9, 16, v9
	s_waitcnt lgkmcnt(0)
	v_mul_f64 v[30:31], v[28:29], v[12:13]
	v_mul_f64 v[28:29], v[28:29], v[10:11]
	s_delay_alu instid0(VALU_DEP_2) | instskip(NEXT) | instid1(VALU_DEP_2)
	v_fma_f64 v[10:11], v[26:27], v[10:11], v[30:31]
	v_fma_f64 v[12:13], v[26:27], v[12:13], -v[28:29]
	s_delay_alu instid0(VALU_DEP_2) | instskip(NEXT) | instid1(VALU_DEP_2)
	v_add_f64 v[3:4], v[3:4], v[10:11]
	v_add_f64 v[1:2], v[1:2], v[12:13]
	s_cbranch_scc0 .LBB62_36
	s_branch .LBB62_33
.LBB62_37:                              ;   in Loop: Header=BB62_9 Depth=1
	s_or_b32 exec_lo, exec_lo, s4
	s_delay_alu instid0(SALU_CYCLE_1)
	s_mov_b32 s4, exec_lo
	s_waitcnt lgkmcnt(0)
	s_barrier
	buffer_gl0_inv
	v_cmpx_gt_i32_e64 s33, v0
	s_cbranch_execz .LBB62_8
; %bb.38:                               ;   in Loop: Header=BB62_9 Depth=1
	v_mov_b32_e32 v1, v24
	v_mov_b32_e32 v2, v0
	s_cmp_gt_i32 s3, 0
	s_mov_b32 s5, 0
	s_cselect_b32 s6, -1, 0
	s_set_inst_prefetch_distance 0x1
	s_branch .LBB62_40
	.p2align	6
.LBB62_39:                              ;   in Loop: Header=BB62_40 Depth=2
	v_add_nc_u32_e32 v2, 0x100, v2
	v_add_nc_u32_e32 v1, 0x1000, v1
	s_delay_alu instid0(VALU_DEP_2) | instskip(SKIP_1) | instid1(SALU_CYCLE_1)
	v_cmp_le_i32_e32 vcc_lo, s33, v2
	s_or_b32 s5, vcc_lo, s5
	s_and_not1_b32 exec_lo, exec_lo, s5
	s_cbranch_execz .LBB62_8
.LBB62_40:                              ;   Parent Loop BB62_9 Depth=1
                                        ; =>  This Loop Header: Depth=2
                                        ;       Child Loop BB62_42 Depth 3
	s_and_not1_b32 vcc_lo, exec_lo, s6
	s_cbranch_vccnz .LBB62_39
; %bb.41:                               ;   in Loop: Header=BB62_40 Depth=2
	v_lshl_add_u32 v3, v2, 4, s34
	v_mov_b32_e32 v4, v1
	s_mov_b32 s7, 0
	s_mov_b32 s10, s24
	.p2align	6
.LBB62_42:                              ;   Parent Loop BB62_9 Depth=1
                                        ;     Parent Loop BB62_40 Depth=2
                                        ; =>    This Inner Loop Header: Depth=3
	s_delay_alu instid0(SALU_CYCLE_1)
	v_mov_b32_e32 v11, s10
	s_add_i32 s7, s7, 1
	s_add_i32 s10, s10, 16
	s_cmp_ge_i32 s7, s3
	ds_load_2addr_b64 v[7:10], v3 offset1:1
	ds_load_2addr_b64 v[11:14], v11 offset1:1
	s_waitcnt lgkmcnt(0)
	v_mul_f64 v[26:27], v[13:14], v[9:10]
	v_mul_f64 v[9:10], v[11:12], v[9:10]
	s_delay_alu instid0(VALU_DEP_2) | instskip(NEXT) | instid1(VALU_DEP_2)
	v_fma_f64 v[11:12], v[11:12], v[7:8], -v[26:27]
	v_fma_f64 v[13:14], v[13:14], v[7:8], v[9:10]
	ds_load_2addr_b64 v[7:10], v4 offset1:1
	s_waitcnt lgkmcnt(0)
	v_add_f64 v[7:8], v[7:8], -v[11:12]
	v_add_f64 v[9:10], v[9:10], -v[13:14]
	ds_store_2addr_b64 v4, v[7:8], v[9:10] offset1:1
	v_add_nc_u32_e32 v4, s28, v4
	s_cbranch_scc0 .LBB62_42
	s_branch .LBB62_39
.LBB62_43:
	s_and_saveexec_b32 s1, s0
	s_cbranch_execz .LBB62_49
; %bb.44:
	v_mul_lo_u32 v0, s12, v15
	v_cmp_gt_i32_e32 vcc_lo, s13, v15
	s_lshl_b32 s2, s18, 1
	s_mov_b32 s3, 0
	s_lshl_b32 s4, s12, 5
	s_delay_alu instid0(VALU_DEP_2) | instskip(SKIP_1) | instid1(VALU_DEP_2)
	v_lshlrev_b32_e32 v2, 4, v0
	v_mad_u64_u32 v[0:1], null, s18, v15, v[5:6]
	v_add3_u32 v3, v2, v16, 0
	s_set_inst_prefetch_distance 0x1
	s_branch .LBB62_46
	.p2align	6
.LBB62_45:                              ;   in Loop: Header=BB62_46 Depth=1
	s_or_b32 exec_lo, exec_lo, s5
	v_add_nc_u32_e32 v5, 0x80, v5
	v_add_nc_u32_e32 v0, 0x80, v0
	;; [unrolled: 1-line block ×3, first 2 shown]
	s_delay_alu instid0(VALU_DEP_3) | instskip(NEXT) | instid1(VALU_DEP_1)
	v_cmp_le_i32_e64 s0, s12, v5
	s_or_b32 s3, s0, s3
	s_delay_alu instid0(SALU_CYCLE_1)
	s_and_not1_b32 exec_lo, exec_lo, s3
	s_cbranch_execz .LBB62_49
.LBB62_46:                              ; =>This Loop Header: Depth=1
                                        ;     Child Loop BB62_48 Depth 2
	s_and_saveexec_b32 s5, vcc_lo
	s_cbranch_execz .LBB62_45
; %bb.47:                               ;   in Loop: Header=BB62_46 Depth=1
	s_delay_alu instid0(VALU_DEP_2)
	v_dual_mov_b32 v4, v3 :: v_dual_mov_b32 v1, v0
	v_mov_b32_e32 v6, v15
	s_mov_b32 s6, 0
	.p2align	6
.LBB62_48:                              ;   Parent Loop BB62_46 Depth=1
                                        ; =>  This Inner Loop Header: Depth=2
	ds_load_2addr_b64 v[7:10], v4 offset1:1
	v_ashrrev_i32_e32 v2, 31, v1
	v_add_nc_u32_e32 v6, 2, v6
	v_add_nc_u32_e32 v4, s4, v4
	s_delay_alu instid0(VALU_DEP_3) | instskip(NEXT) | instid1(VALU_DEP_3)
	v_lshlrev_b64 v[11:12], 4, v[1:2]
	v_cmp_le_i32_e64 s0, s13, v6
	v_add_nc_u32_e32 v1, s2, v1
	s_delay_alu instid0(VALU_DEP_2) | instskip(NEXT) | instid1(VALU_DEP_3)
	s_or_b32 s6, s0, s6
	v_add_co_u32 v11, s1, s16, v11
	s_delay_alu instid0(VALU_DEP_1)
	v_add_co_ci_u32_e64 v12, s1, s17, v12, s1
	s_waitcnt lgkmcnt(0)
	global_store_b128 v[11:12], v[7:10], off
	s_and_not1_b32 exec_lo, exec_lo, s6
	s_cbranch_execnz .LBB62_48
	s_branch .LBB62_45
.LBB62_49:
	s_set_inst_prefetch_distance 0x2
	s_nop 0
	s_sendmsg sendmsg(MSG_DEALLOC_VGPRS)
	s_endpgm
	.section	.rodata,"a",@progbits
	.p2align	6, 0x0
	.amdhsa_kernel _ZN9rocsolver6v33100L18geqr2_kernel_smallILi256E19rocblas_complex_numIdEidPS3_EEvT1_S5_T3_lS5_lPT2_lPT0_l
		.amdhsa_group_segment_fixed_size 0
		.amdhsa_private_segment_fixed_size 0
		.amdhsa_kernarg_size 72
		.amdhsa_user_sgpr_count 14
		.amdhsa_user_sgpr_dispatch_ptr 0
		.amdhsa_user_sgpr_queue_ptr 0
		.amdhsa_user_sgpr_kernarg_segment_ptr 1
		.amdhsa_user_sgpr_dispatch_id 0
		.amdhsa_user_sgpr_private_segment_size 0
		.amdhsa_wavefront_size32 1
		.amdhsa_uses_dynamic_stack 0
		.amdhsa_enable_private_segment 0
		.amdhsa_system_sgpr_workgroup_id_x 1
		.amdhsa_system_sgpr_workgroup_id_y 0
		.amdhsa_system_sgpr_workgroup_id_z 1
		.amdhsa_system_sgpr_workgroup_info 0
		.amdhsa_system_vgpr_workitem_id 0
		.amdhsa_next_free_vgpr 56
		.amdhsa_next_free_sgpr 40
		.amdhsa_reserve_vcc 1
		.amdhsa_float_round_mode_32 0
		.amdhsa_float_round_mode_16_64 0
		.amdhsa_float_denorm_mode_32 3
		.amdhsa_float_denorm_mode_16_64 3
		.amdhsa_dx10_clamp 1
		.amdhsa_ieee_mode 1
		.amdhsa_fp16_overflow 0
		.amdhsa_workgroup_processor_mode 1
		.amdhsa_memory_ordered 1
		.amdhsa_forward_progress 0
		.amdhsa_shared_vgpr_count 0
		.amdhsa_exception_fp_ieee_invalid_op 0
		.amdhsa_exception_fp_denorm_src 0
		.amdhsa_exception_fp_ieee_div_zero 0
		.amdhsa_exception_fp_ieee_overflow 0
		.amdhsa_exception_fp_ieee_underflow 0
		.amdhsa_exception_fp_ieee_inexact 0
		.amdhsa_exception_int_div_zero 0
	.end_amdhsa_kernel
	.section	.text._ZN9rocsolver6v33100L18geqr2_kernel_smallILi256E19rocblas_complex_numIdEidPS3_EEvT1_S5_T3_lS5_lPT2_lPT0_l,"axG",@progbits,_ZN9rocsolver6v33100L18geqr2_kernel_smallILi256E19rocblas_complex_numIdEidPS3_EEvT1_S5_T3_lS5_lPT2_lPT0_l,comdat
.Lfunc_end62:
	.size	_ZN9rocsolver6v33100L18geqr2_kernel_smallILi256E19rocblas_complex_numIdEidPS3_EEvT1_S5_T3_lS5_lPT2_lPT0_l, .Lfunc_end62-_ZN9rocsolver6v33100L18geqr2_kernel_smallILi256E19rocblas_complex_numIdEidPS3_EEvT1_S5_T3_lS5_lPT2_lPT0_l
                                        ; -- End function
	.section	.AMDGPU.csdata,"",@progbits
; Kernel info:
; codeLenInByte = 3528
; NumSgprs: 42
; NumVgprs: 56
; ScratchSize: 0
; MemoryBound: 0
; FloatMode: 240
; IeeeMode: 1
; LDSByteSize: 0 bytes/workgroup (compile time only)
; SGPRBlocks: 5
; VGPRBlocks: 6
; NumSGPRsForWavesPerEU: 42
; NumVGPRsForWavesPerEU: 56
; Occupancy: 16
; WaveLimiterHint : 0
; COMPUTE_PGM_RSRC2:SCRATCH_EN: 0
; COMPUTE_PGM_RSRC2:USER_SGPR: 14
; COMPUTE_PGM_RSRC2:TRAP_HANDLER: 0
; COMPUTE_PGM_RSRC2:TGID_X_EN: 1
; COMPUTE_PGM_RSRC2:TGID_Y_EN: 0
; COMPUTE_PGM_RSRC2:TGID_Z_EN: 1
; COMPUTE_PGM_RSRC2:TIDIG_COMP_CNT: 0
	.section	.text._ZN9rocsolver6v33100L16reset_batch_infoI19rocblas_complex_numIdEiiPS3_EEvT2_lT0_T1_,"axG",@progbits,_ZN9rocsolver6v33100L16reset_batch_infoI19rocblas_complex_numIdEiiPS3_EEvT2_lT0_T1_,comdat
	.globl	_ZN9rocsolver6v33100L16reset_batch_infoI19rocblas_complex_numIdEiiPS3_EEvT2_lT0_T1_ ; -- Begin function _ZN9rocsolver6v33100L16reset_batch_infoI19rocblas_complex_numIdEiiPS3_EEvT2_lT0_T1_
	.p2align	8
	.type	_ZN9rocsolver6v33100L16reset_batch_infoI19rocblas_complex_numIdEiiPS3_EEvT2_lT0_T1_,@function
_ZN9rocsolver6v33100L16reset_batch_infoI19rocblas_complex_numIdEiiPS3_EEvT2_lT0_T1_: ; @_ZN9rocsolver6v33100L16reset_batch_infoI19rocblas_complex_numIdEiiPS3_EEvT2_lT0_T1_
; %bb.0:
	s_clause 0x1
	s_load_b32 s4, s[0:1], 0x24
	s_load_b64 s[2:3], s[0:1], 0x10
	s_waitcnt lgkmcnt(0)
	s_and_b32 s4, s4, 0xffff
	s_delay_alu instid0(SALU_CYCLE_1) | instskip(NEXT) | instid1(VALU_DEP_1)
	v_mad_u64_u32 v[1:2], null, s14, s4, v[0:1]
	v_cmp_gt_i32_e32 vcc_lo, s2, v1
	s_and_saveexec_b32 s2, vcc_lo
	s_cbranch_execz .LBB63_2
; %bb.1:
	v_cvt_f64_i32_e32 v[3:4], s3
	s_load_b128 s[4:7], s[0:1], 0x0
	v_ashrrev_i32_e32 v2, 31, v1
	s_ashr_i32 s0, s15, 31
	v_mov_b32_e32 v5, 0
	s_delay_alu instid0(VALU_DEP_2) | instskip(NEXT) | instid1(VALU_DEP_2)
	v_lshlrev_b64 v[0:1], 4, v[1:2]
	v_mov_b32_e32 v6, v5
	s_waitcnt lgkmcnt(0)
	s_mul_i32 s1, s15, s7
	s_mul_hi_u32 s2, s15, s6
	s_mul_i32 s3, s0, s6
	s_add_i32 s1, s2, s1
	s_mul_i32 s0, s15, s6
	s_add_i32 s1, s1, s3
	s_delay_alu instid0(SALU_CYCLE_1) | instskip(NEXT) | instid1(SALU_CYCLE_1)
	s_lshl_b64 s[0:1], s[0:1], 4
	s_add_u32 s0, s4, s0
	s_addc_u32 s1, s5, s1
	v_add_co_u32 v0, vcc_lo, s0, v0
	v_add_co_ci_u32_e32 v1, vcc_lo, s1, v1, vcc_lo
	global_store_b128 v[0:1], v[3:6], off
.LBB63_2:
	s_nop 0
	s_sendmsg sendmsg(MSG_DEALLOC_VGPRS)
	s_endpgm
	.section	.rodata,"a",@progbits
	.p2align	6, 0x0
	.amdhsa_kernel _ZN9rocsolver6v33100L16reset_batch_infoI19rocblas_complex_numIdEiiPS3_EEvT2_lT0_T1_
		.amdhsa_group_segment_fixed_size 0
		.amdhsa_private_segment_fixed_size 0
		.amdhsa_kernarg_size 280
		.amdhsa_user_sgpr_count 14
		.amdhsa_user_sgpr_dispatch_ptr 0
		.amdhsa_user_sgpr_queue_ptr 0
		.amdhsa_user_sgpr_kernarg_segment_ptr 1
		.amdhsa_user_sgpr_dispatch_id 0
		.amdhsa_user_sgpr_private_segment_size 0
		.amdhsa_wavefront_size32 1
		.amdhsa_uses_dynamic_stack 0
		.amdhsa_enable_private_segment 0
		.amdhsa_system_sgpr_workgroup_id_x 1
		.amdhsa_system_sgpr_workgroup_id_y 1
		.amdhsa_system_sgpr_workgroup_id_z 0
		.amdhsa_system_sgpr_workgroup_info 0
		.amdhsa_system_vgpr_workitem_id 0
		.amdhsa_next_free_vgpr 7
		.amdhsa_next_free_sgpr 16
		.amdhsa_reserve_vcc 1
		.amdhsa_float_round_mode_32 0
		.amdhsa_float_round_mode_16_64 0
		.amdhsa_float_denorm_mode_32 3
		.amdhsa_float_denorm_mode_16_64 3
		.amdhsa_dx10_clamp 1
		.amdhsa_ieee_mode 1
		.amdhsa_fp16_overflow 0
		.amdhsa_workgroup_processor_mode 1
		.amdhsa_memory_ordered 1
		.amdhsa_forward_progress 0
		.amdhsa_shared_vgpr_count 0
		.amdhsa_exception_fp_ieee_invalid_op 0
		.amdhsa_exception_fp_denorm_src 0
		.amdhsa_exception_fp_ieee_div_zero 0
		.amdhsa_exception_fp_ieee_overflow 0
		.amdhsa_exception_fp_ieee_underflow 0
		.amdhsa_exception_fp_ieee_inexact 0
		.amdhsa_exception_int_div_zero 0
	.end_amdhsa_kernel
	.section	.text._ZN9rocsolver6v33100L16reset_batch_infoI19rocblas_complex_numIdEiiPS3_EEvT2_lT0_T1_,"axG",@progbits,_ZN9rocsolver6v33100L16reset_batch_infoI19rocblas_complex_numIdEiiPS3_EEvT2_lT0_T1_,comdat
.Lfunc_end63:
	.size	_ZN9rocsolver6v33100L16reset_batch_infoI19rocblas_complex_numIdEiiPS3_EEvT2_lT0_T1_, .Lfunc_end63-_ZN9rocsolver6v33100L16reset_batch_infoI19rocblas_complex_numIdEiiPS3_EEvT2_lT0_T1_
                                        ; -- End function
	.section	.AMDGPU.csdata,"",@progbits
; Kernel info:
; codeLenInByte = 172
; NumSgprs: 18
; NumVgprs: 7
; ScratchSize: 0
; MemoryBound: 0
; FloatMode: 240
; IeeeMode: 1
; LDSByteSize: 0 bytes/workgroup (compile time only)
; SGPRBlocks: 2
; VGPRBlocks: 0
; NumSGPRsForWavesPerEU: 18
; NumVGPRsForWavesPerEU: 7
; Occupancy: 16
; WaveLimiterHint : 0
; COMPUTE_PGM_RSRC2:SCRATCH_EN: 0
; COMPUTE_PGM_RSRC2:USER_SGPR: 14
; COMPUTE_PGM_RSRC2:TRAP_HANDLER: 0
; COMPUTE_PGM_RSRC2:TGID_X_EN: 1
; COMPUTE_PGM_RSRC2:TGID_Y_EN: 1
; COMPUTE_PGM_RSRC2:TGID_Z_EN: 0
; COMPUTE_PGM_RSRC2:TIDIG_COMP_CNT: 0
	.section	.text._ZN9rocsolver6v33100L8set_diagI19rocblas_complex_numIdEidPS3_TnNSt9enable_ifIXaa18rocblas_is_complexIT_Ent18rocblas_is_complexIT1_EEiE4typeELi0EEEvPS7_llT2_lT0_lSC_b,"axG",@progbits,_ZN9rocsolver6v33100L8set_diagI19rocblas_complex_numIdEidPS3_TnNSt9enable_ifIXaa18rocblas_is_complexIT_Ent18rocblas_is_complexIT1_EEiE4typeELi0EEEvPS7_llT2_lT0_lSC_b,comdat
	.globl	_ZN9rocsolver6v33100L8set_diagI19rocblas_complex_numIdEidPS3_TnNSt9enable_ifIXaa18rocblas_is_complexIT_Ent18rocblas_is_complexIT1_EEiE4typeELi0EEEvPS7_llT2_lT0_lSC_b ; -- Begin function _ZN9rocsolver6v33100L8set_diagI19rocblas_complex_numIdEidPS3_TnNSt9enable_ifIXaa18rocblas_is_complexIT_Ent18rocblas_is_complexIT1_EEiE4typeELi0EEEvPS7_llT2_lT0_lSC_b
	.p2align	8
	.type	_ZN9rocsolver6v33100L8set_diagI19rocblas_complex_numIdEidPS3_TnNSt9enable_ifIXaa18rocblas_is_complexIT_Ent18rocblas_is_complexIT1_EEiE4typeELi0EEEvPS7_llT2_lT0_lSC_b,@function
_ZN9rocsolver6v33100L8set_diagI19rocblas_complex_numIdEidPS3_TnNSt9enable_ifIXaa18rocblas_is_complexIT_Ent18rocblas_is_complexIT1_EEiE4typeELi0EEEvPS7_llT2_lT0_lSC_b: ; @_ZN9rocsolver6v33100L8set_diagI19rocblas_complex_numIdEidPS3_TnNSt9enable_ifIXaa18rocblas_is_complexIT_Ent18rocblas_is_complexIT1_EEiE4typeELi0EEEvPS7_llT2_lT0_lSC_b
; %bb.0:
	s_clause 0x1
	s_load_b32 s4, s[0:1], 0x4c
	s_load_b64 s[2:3], s[0:1], 0x38
	v_bfe_u32 v0, v0, 10, 10
	s_waitcnt lgkmcnt(0)
	s_lshr_b32 s4, s4, 16
	s_delay_alu instid0(VALU_DEP_1) | instid1(SALU_CYCLE_1)
	v_mad_u64_u32 v[2:3], null, s15, s4, v[0:1]
	s_delay_alu instid0(VALU_DEP_1)
	v_cmp_gt_i32_e32 vcc_lo, s2, v2
	s_and_saveexec_b32 s2, vcc_lo
	s_cbranch_execz .LBB64_5
; %bb.1:
	s_clause 0x3
	s_load_b32 s2, s[0:1], 0x28
	s_load_b64 s[12:13], s[0:1], 0x30
	s_load_b256 s[4:11], s[0:1], 0x0
	s_load_b64 s[0:1], s[0:1], 0x20
	s_bitcmp1_b32 s3, 0
	s_cselect_b32 s15, -1, 0
	s_ashr_i32 s16, s14, 31
	s_waitcnt lgkmcnt(0)
	v_mad_u64_u32 v[0:1], null, v2, s2, v[2:3]
	s_mul_i32 s2, s14, s13
	s_mul_hi_u32 s3, s14, s12
	s_mul_i32 s13, s16, s12
	s_add_i32 s3, s3, s2
	s_mul_i32 s2, s14, s12
	s_add_i32 s3, s3, s13
	s_delay_alu instid0(VALU_DEP_1)
	v_ashrrev_i32_e32 v1, 31, v0
	s_lshl_b64 s[2:3], s[2:3], 4
	s_mul_i32 s16, s16, s8
	s_add_u32 s2, s10, s2
	s_addc_u32 s3, s11, s3
	v_lshlrev_b64 v[0:1], 4, v[0:1]
	s_lshl_b64 s[0:1], s[0:1], 4
	v_ashrrev_i32_e32 v3, 31, v2
	s_add_u32 s0, s2, s0
	s_addc_u32 s1, s3, s1
	s_delay_alu instid0(VALU_DEP_2)
	v_add_co_u32 v4, vcc_lo, s0, v0
	v_add_co_ci_u32_e32 v5, vcc_lo, s1, v1, vcc_lo
	s_mul_i32 s0, s14, s9
	s_mul_hi_u32 s1, s14, s8
	v_lshlrev_b64 v[2:3], 3, v[2:3]
	global_load_b64 v[0:1], v[4:5], off
	s_add_i32 s1, s1, s0
	s_mul_i32 s0, s14, s8
	s_add_i32 s1, s1, s16
	s_delay_alu instid0(SALU_CYCLE_1) | instskip(NEXT) | instid1(SALU_CYCLE_1)
	s_lshl_b64 s[0:1], s[0:1], 3
	s_add_u32 s2, s4, s0
	s_addc_u32 s3, s5, s1
	s_lshl_b64 s[0:1], s[6:7], 3
	s_delay_alu instid0(SALU_CYCLE_1)
	s_add_u32 s0, s2, s0
	s_addc_u32 s1, s3, s1
	v_add_co_u32 v2, vcc_lo, s0, v2
	v_add_co_ci_u32_e32 v3, vcc_lo, s1, v3, vcc_lo
	s_and_b32 vcc_lo, exec_lo, s15
	s_waitcnt vmcnt(0)
	global_store_b64 v[2:3], v[0:1], off
	s_cbranch_vccnz .LBB64_3
; %bb.2:
	global_load_b64 v[2:3], v[4:5], off offset:8
	s_branch .LBB64_4
.LBB64_3:
	v_mov_b32_e32 v2, 0
	v_dual_mov_b32 v3, 0 :: v_dual_mov_b32 v0, 0
	v_mov_b32_e32 v1, 0x3ff00000
.LBB64_4:
	s_waitcnt vmcnt(0)
	global_store_b128 v[4:5], v[0:3], off
.LBB64_5:
	s_nop 0
	s_sendmsg sendmsg(MSG_DEALLOC_VGPRS)
	s_endpgm
	.section	.rodata,"a",@progbits
	.p2align	6, 0x0
	.amdhsa_kernel _ZN9rocsolver6v33100L8set_diagI19rocblas_complex_numIdEidPS3_TnNSt9enable_ifIXaa18rocblas_is_complexIT_Ent18rocblas_is_complexIT1_EEiE4typeELi0EEEvPS7_llT2_lT0_lSC_b
		.amdhsa_group_segment_fixed_size 0
		.amdhsa_private_segment_fixed_size 0
		.amdhsa_kernarg_size 320
		.amdhsa_user_sgpr_count 14
		.amdhsa_user_sgpr_dispatch_ptr 0
		.amdhsa_user_sgpr_queue_ptr 0
		.amdhsa_user_sgpr_kernarg_segment_ptr 1
		.amdhsa_user_sgpr_dispatch_id 0
		.amdhsa_user_sgpr_private_segment_size 0
		.amdhsa_wavefront_size32 1
		.amdhsa_uses_dynamic_stack 0
		.amdhsa_enable_private_segment 0
		.amdhsa_system_sgpr_workgroup_id_x 1
		.amdhsa_system_sgpr_workgroup_id_y 1
		.amdhsa_system_sgpr_workgroup_id_z 0
		.amdhsa_system_sgpr_workgroup_info 0
		.amdhsa_system_vgpr_workitem_id 1
		.amdhsa_next_free_vgpr 6
		.amdhsa_next_free_sgpr 17
		.amdhsa_reserve_vcc 1
		.amdhsa_float_round_mode_32 0
		.amdhsa_float_round_mode_16_64 0
		.amdhsa_float_denorm_mode_32 3
		.amdhsa_float_denorm_mode_16_64 3
		.amdhsa_dx10_clamp 1
		.amdhsa_ieee_mode 1
		.amdhsa_fp16_overflow 0
		.amdhsa_workgroup_processor_mode 1
		.amdhsa_memory_ordered 1
		.amdhsa_forward_progress 0
		.amdhsa_shared_vgpr_count 0
		.amdhsa_exception_fp_ieee_invalid_op 0
		.amdhsa_exception_fp_denorm_src 0
		.amdhsa_exception_fp_ieee_div_zero 0
		.amdhsa_exception_fp_ieee_overflow 0
		.amdhsa_exception_fp_ieee_underflow 0
		.amdhsa_exception_fp_ieee_inexact 0
		.amdhsa_exception_int_div_zero 0
	.end_amdhsa_kernel
	.section	.text._ZN9rocsolver6v33100L8set_diagI19rocblas_complex_numIdEidPS3_TnNSt9enable_ifIXaa18rocblas_is_complexIT_Ent18rocblas_is_complexIT1_EEiE4typeELi0EEEvPS7_llT2_lT0_lSC_b,"axG",@progbits,_ZN9rocsolver6v33100L8set_diagI19rocblas_complex_numIdEidPS3_TnNSt9enable_ifIXaa18rocblas_is_complexIT_Ent18rocblas_is_complexIT1_EEiE4typeELi0EEEvPS7_llT2_lT0_lSC_b,comdat
.Lfunc_end64:
	.size	_ZN9rocsolver6v33100L8set_diagI19rocblas_complex_numIdEidPS3_TnNSt9enable_ifIXaa18rocblas_is_complexIT_Ent18rocblas_is_complexIT1_EEiE4typeELi0EEEvPS7_llT2_lT0_lSC_b, .Lfunc_end64-_ZN9rocsolver6v33100L8set_diagI19rocblas_complex_numIdEidPS3_TnNSt9enable_ifIXaa18rocblas_is_complexIT_Ent18rocblas_is_complexIT1_EEiE4typeELi0EEEvPS7_llT2_lT0_lSC_b
                                        ; -- End function
	.section	.AMDGPU.csdata,"",@progbits
; Kernel info:
; codeLenInByte = 368
; NumSgprs: 19
; NumVgprs: 6
; ScratchSize: 0
; MemoryBound: 0
; FloatMode: 240
; IeeeMode: 1
; LDSByteSize: 0 bytes/workgroup (compile time only)
; SGPRBlocks: 2
; VGPRBlocks: 0
; NumSGPRsForWavesPerEU: 19
; NumVGPRsForWavesPerEU: 6
; Occupancy: 16
; WaveLimiterHint : 0
; COMPUTE_PGM_RSRC2:SCRATCH_EN: 0
; COMPUTE_PGM_RSRC2:USER_SGPR: 14
; COMPUTE_PGM_RSRC2:TRAP_HANDLER: 0
; COMPUTE_PGM_RSRC2:TGID_X_EN: 1
; COMPUTE_PGM_RSRC2:TGID_Y_EN: 1
; COMPUTE_PGM_RSRC2:TGID_Z_EN: 0
; COMPUTE_PGM_RSRC2:TIDIG_COMP_CNT: 1
	.section	.text._ZN9rocsolver6v33100L11set_taubetaI19rocblas_complex_numIdEidPS3_EEvPT_lS6_T2_llPT1_ll,"axG",@progbits,_ZN9rocsolver6v33100L11set_taubetaI19rocblas_complex_numIdEidPS3_EEvPT_lS6_T2_llPT1_ll,comdat
	.globl	_ZN9rocsolver6v33100L11set_taubetaI19rocblas_complex_numIdEidPS3_EEvPT_lS6_T2_llPT1_ll ; -- Begin function _ZN9rocsolver6v33100L11set_taubetaI19rocblas_complex_numIdEidPS3_EEvPT_lS6_T2_llPT1_ll
	.p2align	8
	.type	_ZN9rocsolver6v33100L11set_taubetaI19rocblas_complex_numIdEidPS3_EEvPT_lS6_T2_llPT1_ll,@function
_ZN9rocsolver6v33100L11set_taubetaI19rocblas_complex_numIdEidPS3_EEvPT_lS6_T2_llPT1_ll: ; @_ZN9rocsolver6v33100L11set_taubetaI19rocblas_complex_numIdEidPS3_EEvPT_lS6_T2_llPT1_ll
; %bb.0:
	s_mov_b32 s2, s15
	s_load_b512 s[4:19], s[0:1], 0x0
	s_ashr_i32 s3, s2, 31
	s_mov_b64 s[20:21], 0
	s_waitcnt lgkmcnt(0)
	s_cmp_eq_u64 s[16:17], 0
	s_cbranch_scc1 .LBB65_2
; %bb.1:
	s_load_b64 s[0:1], s[0:1], 0x40
	s_waitcnt lgkmcnt(0)
	s_mul_i32 s1, s2, s1
	s_mul_hi_u32 s20, s2, s0
	s_mul_i32 s21, s3, s0
	s_add_i32 s1, s20, s1
	s_mul_i32 s0, s2, s0
	s_add_i32 s1, s1, s21
	s_delay_alu instid0(SALU_CYCLE_1) | instskip(NEXT) | instid1(SALU_CYCLE_1)
	s_lshl_b64 s[0:1], s[0:1], 3
	s_add_u32 s16, s16, s0
	s_addc_u32 s17, s17, s1
	s_lshl_b64 s[0:1], s[18:19], 3
	s_delay_alu instid0(SALU_CYCLE_1)
	s_add_u32 s20, s16, s0
	s_addc_u32 s21, s17, s1
.LBB65_2:
	s_mul_i32 s0, s2, s15
	s_mul_hi_u32 s1, s2, s14
	s_mul_i32 s15, s3, s14
	s_add_i32 s1, s1, s0
	s_mul_i32 s0, s2, s14
	s_add_i32 s1, s1, s15
	s_mul_i32 s7, s2, s7
	s_lshl_b64 s[0:1], s[0:1], 4
	s_delay_alu instid0(SALU_CYCLE_1) | instskip(SKIP_2) | instid1(SALU_CYCLE_1)
	s_add_u32 s10, s10, s0
	s_addc_u32 s11, s11, s1
	s_lshl_b64 s[0:1], s[12:13], 4
	s_add_u32 s10, s10, s0
	s_mul_hi_u32 s0, s2, s6
	s_addc_u32 s11, s11, s1
	s_add_i32 s0, s0, s7
	s_mul_i32 s1, s3, s6
	s_delay_alu instid0(SALU_CYCLE_1) | instskip(SKIP_1) | instid1(SALU_CYCLE_1)
	s_add_i32 s1, s0, s1
	s_mul_i32 s0, s2, s6
	s_lshl_b64 s[0:1], s[0:1], 4
	s_delay_alu instid0(SALU_CYCLE_1)
	s_add_u32 s4, s4, s0
	s_addc_u32 s5, s5, s1
	s_lshl_b64 s[0:1], s[2:3], 4
	s_mov_b32 s2, 0
	s_add_u32 s6, s8, s0
	s_addc_u32 s7, s9, s1
	s_load_b64 s[8:9], s[10:11], 0x8
	s_load_b64 s[0:1], s[6:7], 0x0
	s_cmp_eq_u64 s[20:21], 0
	s_cselect_b32 s3, -1, 0
	s_cmp_lg_u64 s[20:21], 0
	s_cselect_b32 s12, -1, 0
	s_waitcnt lgkmcnt(0)
	v_mul_f64 v[4:5], s[8:9], s[8:9]
	v_max_f64 v[0:1], s[0:1], s[0:1]
	s_delay_alu instid0(VALU_DEP_1) | instskip(NEXT) | instid1(VALU_DEP_1)
	v_max_f64 v[0:1], v[0:1], v[4:5]
	v_cmp_nlt_f64_e32 vcc_lo, 0, v[0:1]
	s_cbranch_vccz .LBB65_5
; %bb.3:
	v_dual_mov_b32 v0, 0 :: v_dual_mov_b32 v1, 0x3ff00000
	s_mov_b32 s14, 0
	s_and_b32 vcc_lo, exec_lo, s12
	s_delay_alu instid0(VALU_DEP_1)
	v_mov_b32_e32 v2, v0
	v_mov_b32_e32 v3, v0
	global_store_b128 v0, v[0:3], s[6:7]
	v_mov_b32_e32 v1, v0
	global_store_b128 v0, v[0:3], s[4:5]
	s_cbranch_vccz .LBB65_6
; %bb.4:
	global_load_b64 v[0:1], v0, s[10:11]
	s_mov_b32 s13, -1
	s_and_b32 vcc_lo, exec_lo, s14
	s_cbranch_vccnz .LBB65_7
	s_branch .LBB65_8
.LBB65_5:
	s_mov_b32 s14, -1
.LBB65_6:
	s_mov_b32 s13, 0
                                        ; implicit-def: $vgpr0_vgpr1
	s_and_b32 vcc_lo, exec_lo, s14
	s_cbranch_vccz .LBB65_8
.LBB65_7:
	s_load_b64 s[14:15], s[10:11], 0x0
	s_mov_b32 s13, s12
	s_waitcnt vmcnt(0) lgkmcnt(0)
	v_fma_f64 v[0:1], s[14:15], s[14:15], v[4:5]
	s_delay_alu instid0(VALU_DEP_1) | instskip(NEXT) | instid1(VALU_DEP_1)
	v_add_f64 v[0:1], s[0:1], v[0:1]
	v_cmp_gt_f64_e32 vcc_lo, 0x10000000, v[0:1]
	v_cndmask_b32_e64 v2, 0, 1, vcc_lo
	s_and_b32 s0, vcc_lo, exec_lo
	s_cselect_b32 s0, 0xffffff80, 0
	s_delay_alu instid0(VALU_DEP_1) | instskip(NEXT) | instid1(VALU_DEP_1)
	v_lshlrev_b32_e32 v2, 8, v2
	v_ldexp_f64 v[0:1], v[0:1], v2
	s_delay_alu instid0(VALU_DEP_1) | instskip(SKIP_4) | instid1(VALU_DEP_1)
	v_rsq_f64_e32 v[2:3], v[0:1]
	v_cmp_class_f64_e64 vcc_lo, v[0:1], 0x260
	s_waitcnt_depctr 0xfff
	v_mul_f64 v[6:7], v[0:1], v[2:3]
	v_mul_f64 v[2:3], v[2:3], 0.5
	v_fma_f64 v[8:9], -v[2:3], v[6:7], 0.5
	s_delay_alu instid0(VALU_DEP_1) | instskip(SKIP_1) | instid1(VALU_DEP_2)
	v_fma_f64 v[6:7], v[6:7], v[8:9], v[6:7]
	v_fma_f64 v[2:3], v[2:3], v[8:9], v[2:3]
	v_fma_f64 v[8:9], -v[6:7], v[6:7], v[0:1]
	s_delay_alu instid0(VALU_DEP_1) | instskip(NEXT) | instid1(VALU_DEP_1)
	v_fma_f64 v[6:7], v[8:9], v[2:3], v[6:7]
	v_fma_f64 v[8:9], -v[6:7], v[6:7], v[0:1]
	s_delay_alu instid0(VALU_DEP_1) | instskip(NEXT) | instid1(VALU_DEP_1)
	v_fma_f64 v[2:3], v[8:9], v[2:3], v[6:7]
	v_ldexp_f64 v[2:3], v[2:3], s0
	s_delay_alu instid0(VALU_DEP_1) | instskip(SKIP_1) | instid1(VALU_DEP_2)
	v_dual_cndmask_b32 v1, v3, v1 :: v_dual_cndmask_b32 v0, v2, v0
	v_cmp_ge_f64_e64 vcc_lo, s[14:15], 0
	v_xor_b32_e32 v2, 0x80000000, v1
	s_delay_alu instid0(VALU_DEP_1) | instskip(NEXT) | instid1(VALU_DEP_1)
	v_cndmask_b32_e32 v1, v1, v2, vcc_lo
	v_add_f64 v[2:3], s[14:15], -v[0:1]
	v_add_f64 v[6:7], v[0:1], -s[14:15]
	v_div_scale_f64 v[14:15], null, v[0:1], v[0:1], -s[8:9]
	s_delay_alu instid0(VALU_DEP_3) | instskip(NEXT) | instid1(VALU_DEP_3)
	v_fma_f64 v[4:5], v[2:3], v[2:3], v[4:5]
	v_div_scale_f64 v[12:13], null, v[0:1], v[0:1], v[6:7]
	s_delay_alu instid0(VALU_DEP_3) | instskip(NEXT) | instid1(VALU_DEP_2)
	v_rcp_f64_e32 v[22:23], v[14:15]
	v_div_scale_f64 v[8:9], null, v[4:5], v[4:5], v[2:3]
	v_div_scale_f64 v[10:11], null, v[4:5], v[4:5], -s[8:9]
	s_delay_alu instid0(VALU_DEP_3)
	v_rcp_f64_e32 v[20:21], v[12:13]
	s_waitcnt_depctr 0xfff
	v_fma_f64 v[30:31], -v[14:15], v[22:23], 1.0
	v_div_scale_f64 v[32:33], vcc_lo, v[2:3], v[4:5], v[2:3]
	v_rcp_f64_e32 v[16:17], v[8:9]
	v_rcp_f64_e32 v[18:19], v[10:11]
	s_delay_alu instid0(VALU_DEP_2)
	v_fma_f64 v[22:23], v[22:23], v[30:31], v[22:23]
	v_fma_f64 v[28:29], -v[12:13], v[20:21], 1.0
	s_waitcnt_depctr 0xfff
	v_fma_f64 v[24:25], -v[8:9], v[16:17], 1.0
	v_fma_f64 v[26:27], -v[10:11], v[18:19], 1.0
	;; [unrolled: 1-line block ×3, first 2 shown]
	v_fma_f64 v[20:21], v[20:21], v[28:29], v[20:21]
	s_delay_alu instid0(VALU_DEP_4) | instskip(NEXT) | instid1(VALU_DEP_4)
	v_fma_f64 v[16:17], v[16:17], v[24:25], v[16:17]
	v_fma_f64 v[18:19], v[18:19], v[26:27], v[18:19]
	s_delay_alu instid0(VALU_DEP_4) | instskip(NEXT) | instid1(VALU_DEP_4)
	v_fma_f64 v[22:23], v[22:23], v[30:31], v[22:23]
	v_fma_f64 v[28:29], -v[12:13], v[20:21], 1.0
	s_delay_alu instid0(VALU_DEP_4) | instskip(NEXT) | instid1(VALU_DEP_4)
	v_fma_f64 v[24:25], -v[8:9], v[16:17], 1.0
	v_fma_f64 v[26:27], -v[10:11], v[18:19], 1.0
	s_delay_alu instid0(VALU_DEP_3) | instskip(SKIP_1) | instid1(VALU_DEP_4)
	v_fma_f64 v[20:21], v[20:21], v[28:29], v[20:21]
	v_div_scale_f64 v[28:29], s2, -s[8:9], v[0:1], -s[8:9]
	v_fma_f64 v[16:17], v[16:17], v[24:25], v[16:17]
	v_div_scale_f64 v[24:25], s0, -s[8:9], v[4:5], -s[8:9]
	v_fma_f64 v[18:19], v[18:19], v[26:27], v[18:19]
	v_div_scale_f64 v[26:27], s1, v[6:7], v[0:1], v[6:7]
	v_mul_f64 v[38:39], v[28:29], v[22:23]
	v_mul_f64 v[30:31], v[32:33], v[16:17]
	s_delay_alu instid0(VALU_DEP_4) | instskip(NEXT) | instid1(VALU_DEP_4)
	v_mul_f64 v[34:35], v[24:25], v[18:19]
	v_mul_f64 v[36:37], v[26:27], v[20:21]
	s_delay_alu instid0(VALU_DEP_4) | instskip(NEXT) | instid1(VALU_DEP_4)
	v_fma_f64 v[14:15], -v[14:15], v[38:39], v[28:29]
	v_fma_f64 v[8:9], -v[8:9], v[30:31], v[32:33]
	s_delay_alu instid0(VALU_DEP_4) | instskip(NEXT) | instid1(VALU_DEP_4)
	v_fma_f64 v[10:11], -v[10:11], v[34:35], v[24:25]
	v_fma_f64 v[12:13], -v[12:13], v[36:37], v[26:27]
	s_delay_alu instid0(VALU_DEP_3) | instskip(SKIP_1) | instid1(VALU_DEP_3)
	v_div_fmas_f64 v[8:9], v[8:9], v[16:17], v[30:31]
	s_mov_b32 vcc_lo, s0
	v_div_fmas_f64 v[10:11], v[10:11], v[18:19], v[34:35]
	s_mov_b32 vcc_lo, s1
	s_delay_alu instid0(VALU_DEP_3) | instskip(SKIP_3) | instid1(VALU_DEP_4)
	v_div_fmas_f64 v[12:13], v[12:13], v[20:21], v[36:37]
	s_mov_b32 vcc_lo, s2
	s_mov_b32 s2, s3
	v_div_fmas_f64 v[14:15], v[14:15], v[22:23], v[38:39]
	v_div_fixup_f64 v[2:3], v[8:9], v[4:5], v[2:3]
	s_delay_alu instid0(VALU_DEP_4)
	v_div_fixup_f64 v[4:5], v[10:11], v[4:5], -s[8:9]
	v_mov_b32_e32 v10, 0
	v_div_fixup_f64 v[6:7], v[12:13], v[0:1], v[6:7]
	v_div_fixup_f64 v[8:9], v[14:15], v[0:1], -s[8:9]
	s_clause 0x1
	global_store_b128 v10, v[2:5], s[6:7]
	global_store_b128 v10, v[6:9], s[4:5]
.LBB65_8:
	s_and_not1_b32 vcc_lo, exec_lo, s13
	s_cbranch_vccz .LBB65_11
; %bb.9:
	s_and_not1_b32 vcc_lo, exec_lo, s2
	s_cbranch_vccz .LBB65_12
; %bb.10:
	s_endpgm
.LBB65_11:
	v_dual_mov_b32 v2, s20 :: v_dual_mov_b32 v3, s21
	s_waitcnt vmcnt(0)
	flat_store_b64 v[2:3], v[0:1]
	v_mov_b32_e32 v0, 0
	v_mov_b32_e32 v1, 0x3ff00000
.LBB65_12:
	v_mov_b32_e32 v2, 0
	s_delay_alu instid0(VALU_DEP_1)
	v_mov_b32_e32 v3, v2
	s_waitcnt vmcnt(0) lgkmcnt(0)
	global_store_b128 v2, v[0:3], s[10:11]
	s_endpgm
	.section	.rodata,"a",@progbits
	.p2align	6, 0x0
	.amdhsa_kernel _ZN9rocsolver6v33100L11set_taubetaI19rocblas_complex_numIdEidPS3_EEvPT_lS6_T2_llPT1_ll
		.amdhsa_group_segment_fixed_size 0
		.amdhsa_private_segment_fixed_size 0
		.amdhsa_kernarg_size 72
		.amdhsa_user_sgpr_count 15
		.amdhsa_user_sgpr_dispatch_ptr 0
		.amdhsa_user_sgpr_queue_ptr 0
		.amdhsa_user_sgpr_kernarg_segment_ptr 1
		.amdhsa_user_sgpr_dispatch_id 0
		.amdhsa_user_sgpr_private_segment_size 0
		.amdhsa_wavefront_size32 1
		.amdhsa_uses_dynamic_stack 0
		.amdhsa_enable_private_segment 0
		.amdhsa_system_sgpr_workgroup_id_x 1
		.amdhsa_system_sgpr_workgroup_id_y 0
		.amdhsa_system_sgpr_workgroup_id_z 0
		.amdhsa_system_sgpr_workgroup_info 0
		.amdhsa_system_vgpr_workitem_id 0
		.amdhsa_next_free_vgpr 40
		.amdhsa_next_free_sgpr 22
		.amdhsa_reserve_vcc 1
		.amdhsa_float_round_mode_32 0
		.amdhsa_float_round_mode_16_64 0
		.amdhsa_float_denorm_mode_32 3
		.amdhsa_float_denorm_mode_16_64 3
		.amdhsa_dx10_clamp 1
		.amdhsa_ieee_mode 1
		.amdhsa_fp16_overflow 0
		.amdhsa_workgroup_processor_mode 1
		.amdhsa_memory_ordered 1
		.amdhsa_forward_progress 0
		.amdhsa_shared_vgpr_count 0
		.amdhsa_exception_fp_ieee_invalid_op 0
		.amdhsa_exception_fp_denorm_src 0
		.amdhsa_exception_fp_ieee_div_zero 0
		.amdhsa_exception_fp_ieee_overflow 0
		.amdhsa_exception_fp_ieee_underflow 0
		.amdhsa_exception_fp_ieee_inexact 0
		.amdhsa_exception_int_div_zero 0
	.end_amdhsa_kernel
	.section	.text._ZN9rocsolver6v33100L11set_taubetaI19rocblas_complex_numIdEidPS3_EEvPT_lS6_T2_llPT1_ll,"axG",@progbits,_ZN9rocsolver6v33100L11set_taubetaI19rocblas_complex_numIdEidPS3_EEvPT_lS6_T2_llPT1_ll,comdat
.Lfunc_end65:
	.size	_ZN9rocsolver6v33100L11set_taubetaI19rocblas_complex_numIdEidPS3_EEvPT_lS6_T2_llPT1_ll, .Lfunc_end65-_ZN9rocsolver6v33100L11set_taubetaI19rocblas_complex_numIdEidPS3_EEvPT_lS6_T2_llPT1_ll
                                        ; -- End function
	.section	.AMDGPU.csdata,"",@progbits
; Kernel info:
; codeLenInByte = 1156
; NumSgprs: 24
; NumVgprs: 40
; ScratchSize: 0
; MemoryBound: 0
; FloatMode: 240
; IeeeMode: 1
; LDSByteSize: 0 bytes/workgroup (compile time only)
; SGPRBlocks: 2
; VGPRBlocks: 4
; NumSGPRsForWavesPerEU: 24
; NumVGPRsForWavesPerEU: 40
; Occupancy: 16
; WaveLimiterHint : 0
; COMPUTE_PGM_RSRC2:SCRATCH_EN: 0
; COMPUTE_PGM_RSRC2:USER_SGPR: 15
; COMPUTE_PGM_RSRC2:TRAP_HANDLER: 0
; COMPUTE_PGM_RSRC2:TGID_X_EN: 1
; COMPUTE_PGM_RSRC2:TGID_Y_EN: 0
; COMPUTE_PGM_RSRC2:TGID_Z_EN: 0
; COMPUTE_PGM_RSRC2:TIDIG_COMP_CNT: 0
	.section	.text._ZN9rocsolver6v33100L13conj_in_placeI19rocblas_complex_numIdEiPS3_TnNSt9enable_ifIX18rocblas_is_complexIT_EEiE4typeELi0EEEvT0_S9_T1_lS9_l,"axG",@progbits,_ZN9rocsolver6v33100L13conj_in_placeI19rocblas_complex_numIdEiPS3_TnNSt9enable_ifIX18rocblas_is_complexIT_EEiE4typeELi0EEEvT0_S9_T1_lS9_l,comdat
	.globl	_ZN9rocsolver6v33100L13conj_in_placeI19rocblas_complex_numIdEiPS3_TnNSt9enable_ifIX18rocblas_is_complexIT_EEiE4typeELi0EEEvT0_S9_T1_lS9_l ; -- Begin function _ZN9rocsolver6v33100L13conj_in_placeI19rocblas_complex_numIdEiPS3_TnNSt9enable_ifIX18rocblas_is_complexIT_EEiE4typeELi0EEEvT0_S9_T1_lS9_l
	.p2align	8
	.type	_ZN9rocsolver6v33100L13conj_in_placeI19rocblas_complex_numIdEiPS3_TnNSt9enable_ifIX18rocblas_is_complexIT_EEiE4typeELi0EEEvT0_S9_T1_lS9_l,@function
_ZN9rocsolver6v33100L13conj_in_placeI19rocblas_complex_numIdEiPS3_TnNSt9enable_ifIX18rocblas_is_complexIT_EEiE4typeELi0EEEvT0_S9_T1_lS9_l: ; @_ZN9rocsolver6v33100L13conj_in_placeI19rocblas_complex_numIdEiPS3_TnNSt9enable_ifIX18rocblas_is_complexIT_EEiE4typeELi0EEEvT0_S9_T1_lS9_l
; %bb.0:
	s_clause 0x1
	s_load_b32 s4, s[0:1], 0x34
	s_load_b64 s[2:3], s[0:1], 0x0
	v_and_b32_e32 v2, 0x3ff, v0
	v_bfe_u32 v3, v0, 10, 10
	s_waitcnt lgkmcnt(0)
	s_lshr_b32 s5, s4, 16
	s_and_b32 s4, s4, 0xffff
	s_delay_alu instid0(VALU_DEP_1) | instid1(SALU_CYCLE_1)
	v_mad_u64_u32 v[0:1], null, s13, s4, v[2:3]
	v_mad_u64_u32 v[1:2], null, s14, s5, v[3:4]
	s_delay_alu instid0(VALU_DEP_2) | instskip(NEXT) | instid1(VALU_DEP_2)
	v_cmp_gt_i32_e32 vcc_lo, s2, v0
	v_cmp_gt_i32_e64 s2, s3, v1
	s_delay_alu instid0(VALU_DEP_1) | instskip(NEXT) | instid1(SALU_CYCLE_1)
	s_and_b32 s2, vcc_lo, s2
	s_and_saveexec_b32 s3, s2
	s_cbranch_execz .LBB66_2
; %bb.1:
	s_clause 0x2
	s_load_b64 s[4:5], s[0:1], 0x20
	s_load_b32 s6, s[0:1], 0x18
	s_load_b128 s[0:3], s[0:1], 0x8
	s_ashr_i32 s7, s15, 31
	s_waitcnt lgkmcnt(0)
	s_mul_i32 s5, s15, s5
	v_mad_i64_i32 v[5:6], null, v1, s6, 0
	s_mul_hi_u32 s8, s15, s4
	s_mul_i32 s7, s7, s4
	s_add_i32 s5, s8, s5
	s_mul_i32 s4, s15, s4
	s_add_i32 s5, s5, s7
	v_ashrrev_i32_e32 v1, 31, v0
	s_lshl_b64 s[4:5], s[4:5], 4
	v_lshlrev_b64 v[2:3], 4, v[5:6]
	s_add_u32 s4, s0, s4
	s_addc_u32 s5, s1, s5
	s_lshl_b64 s[0:1], s[2:3], 4
	v_lshlrev_b64 v[6:7], 4, v[0:1]
	s_add_u32 s0, s4, s0
	s_addc_u32 s1, s5, s1
	v_add_co_u32 v1, vcc_lo, s0, v2
	v_add_co_ci_u32_e32 v2, vcc_lo, s1, v3, vcc_lo
	v_add_nc_u32_e32 v5, v5, v0
	s_delay_alu instid0(VALU_DEP_3) | instskip(NEXT) | instid1(VALU_DEP_3)
	v_add_co_u32 v1, vcc_lo, v1, v6
	v_add_co_ci_u32_e32 v2, vcc_lo, v2, v7, vcc_lo
	s_delay_alu instid0(VALU_DEP_3) | instskip(SKIP_2) | instid1(VALU_DEP_1)
	v_ashrrev_i32_e32 v6, 31, v5
	global_load_b128 v[1:4], v[1:2], off
	v_lshlrev_b64 v[5:6], 4, v[5:6]
	v_add_co_u32 v5, vcc_lo, s0, v5
	s_delay_alu instid0(VALU_DEP_2)
	v_add_co_ci_u32_e32 v6, vcc_lo, s1, v6, vcc_lo
	s_waitcnt vmcnt(0)
	v_xor_b32_e32 v4, 0x80000000, v4
	global_store_b128 v[5:6], v[1:4], off
.LBB66_2:
	s_nop 0
	s_sendmsg sendmsg(MSG_DEALLOC_VGPRS)
	s_endpgm
	.section	.rodata,"a",@progbits
	.p2align	6, 0x0
	.amdhsa_kernel _ZN9rocsolver6v33100L13conj_in_placeI19rocblas_complex_numIdEiPS3_TnNSt9enable_ifIX18rocblas_is_complexIT_EEiE4typeELi0EEEvT0_S9_T1_lS9_l
		.amdhsa_group_segment_fixed_size 0
		.amdhsa_private_segment_fixed_size 0
		.amdhsa_kernarg_size 296
		.amdhsa_user_sgpr_count 13
		.amdhsa_user_sgpr_dispatch_ptr 0
		.amdhsa_user_sgpr_queue_ptr 0
		.amdhsa_user_sgpr_kernarg_segment_ptr 1
		.amdhsa_user_sgpr_dispatch_id 0
		.amdhsa_user_sgpr_private_segment_size 0
		.amdhsa_wavefront_size32 1
		.amdhsa_uses_dynamic_stack 0
		.amdhsa_enable_private_segment 0
		.amdhsa_system_sgpr_workgroup_id_x 1
		.amdhsa_system_sgpr_workgroup_id_y 1
		.amdhsa_system_sgpr_workgroup_id_z 1
		.amdhsa_system_sgpr_workgroup_info 0
		.amdhsa_system_vgpr_workitem_id 1
		.amdhsa_next_free_vgpr 8
		.amdhsa_next_free_sgpr 16
		.amdhsa_reserve_vcc 1
		.amdhsa_float_round_mode_32 0
		.amdhsa_float_round_mode_16_64 0
		.amdhsa_float_denorm_mode_32 3
		.amdhsa_float_denorm_mode_16_64 3
		.amdhsa_dx10_clamp 1
		.amdhsa_ieee_mode 1
		.amdhsa_fp16_overflow 0
		.amdhsa_workgroup_processor_mode 1
		.amdhsa_memory_ordered 1
		.amdhsa_forward_progress 0
		.amdhsa_shared_vgpr_count 0
		.amdhsa_exception_fp_ieee_invalid_op 0
		.amdhsa_exception_fp_denorm_src 0
		.amdhsa_exception_fp_ieee_div_zero 0
		.amdhsa_exception_fp_ieee_overflow 0
		.amdhsa_exception_fp_ieee_underflow 0
		.amdhsa_exception_fp_ieee_inexact 0
		.amdhsa_exception_int_div_zero 0
	.end_amdhsa_kernel
	.section	.text._ZN9rocsolver6v33100L13conj_in_placeI19rocblas_complex_numIdEiPS3_TnNSt9enable_ifIX18rocblas_is_complexIT_EEiE4typeELi0EEEvT0_S9_T1_lS9_l,"axG",@progbits,_ZN9rocsolver6v33100L13conj_in_placeI19rocblas_complex_numIdEiPS3_TnNSt9enable_ifIX18rocblas_is_complexIT_EEiE4typeELi0EEEvT0_S9_T1_lS9_l,comdat
.Lfunc_end66:
	.size	_ZN9rocsolver6v33100L13conj_in_placeI19rocblas_complex_numIdEiPS3_TnNSt9enable_ifIX18rocblas_is_complexIT_EEiE4typeELi0EEEvT0_S9_T1_lS9_l, .Lfunc_end66-_ZN9rocsolver6v33100L13conj_in_placeI19rocblas_complex_numIdEiPS3_TnNSt9enable_ifIX18rocblas_is_complexIT_EEiE4typeELi0EEEvT0_S9_T1_lS9_l
                                        ; -- End function
	.section	.AMDGPU.csdata,"",@progbits
; Kernel info:
; codeLenInByte = 320
; NumSgprs: 18
; NumVgprs: 8
; ScratchSize: 0
; MemoryBound: 0
; FloatMode: 240
; IeeeMode: 1
; LDSByteSize: 0 bytes/workgroup (compile time only)
; SGPRBlocks: 2
; VGPRBlocks: 0
; NumSGPRsForWavesPerEU: 18
; NumVGPRsForWavesPerEU: 8
; Occupancy: 16
; WaveLimiterHint : 0
; COMPUTE_PGM_RSRC2:SCRATCH_EN: 0
; COMPUTE_PGM_RSRC2:USER_SGPR: 13
; COMPUTE_PGM_RSRC2:TRAP_HANDLER: 0
; COMPUTE_PGM_RSRC2:TGID_X_EN: 1
; COMPUTE_PGM_RSRC2:TGID_Y_EN: 1
; COMPUTE_PGM_RSRC2:TGID_Z_EN: 1
; COMPUTE_PGM_RSRC2:TIDIG_COMP_CNT: 1
	.section	.text._ZN9rocsolver6v33100L16larf_left_kernelILi1024E19rocblas_complex_numIdEiPS3_EEvT1_S5_T2_lS5_lPKT0_lS6_lS5_l,"axG",@progbits,_ZN9rocsolver6v33100L16larf_left_kernelILi1024E19rocblas_complex_numIdEiPS3_EEvT1_S5_T2_lS5_lPKT0_lS6_lS5_l,comdat
	.globl	_ZN9rocsolver6v33100L16larf_left_kernelILi1024E19rocblas_complex_numIdEiPS3_EEvT1_S5_T2_lS5_lPKT0_lS6_lS5_l ; -- Begin function _ZN9rocsolver6v33100L16larf_left_kernelILi1024E19rocblas_complex_numIdEiPS3_EEvT1_S5_T2_lS5_lPKT0_lS6_lS5_l
	.p2align	8
	.type	_ZN9rocsolver6v33100L16larf_left_kernelILi1024E19rocblas_complex_numIdEiPS3_EEvT1_S5_T2_lS5_lPKT0_lS6_lS5_l,@function
_ZN9rocsolver6v33100L16larf_left_kernelILi1024E19rocblas_complex_numIdEiPS3_EEvT1_S5_T2_lS5_lPKT0_lS6_lS5_l: ; @_ZN9rocsolver6v33100L16larf_left_kernelILi1024E19rocblas_complex_numIdEiPS3_EEvT1_S5_T2_lS5_lPKT0_lS6_lS5_l
; %bb.0:
	s_clause 0x4
	s_load_b32 s20, s[0:1], 0x0
	s_load_b64 s[2:3], s[0:1], 0x50
	s_load_b32 s16, s[0:1], 0x48
	s_load_b64 s[12:13], s[0:1], 0x40
	s_load_b256 s[4:11], s[0:1], 0x20
	v_mov_b32_e32 v1, 0
	v_dual_mov_b32 v2, 0 :: v_dual_lshlrev_b32 v7, 4, v0
	s_ashr_i32 s24, s15, 31
	s_delay_alu instid0(VALU_DEP_1)
	v_dual_mov_b32 v4, v2 :: v_dual_mov_b32 v3, v1
	s_waitcnt lgkmcnt(0)
	v_cmp_gt_i32_e32 vcc_lo, s20, v0
	s_mul_i32 s21, s2, s24
	s_mul_hi_u32 s22, s2, s15
	s_mul_i32 s23, s3, s15
	s_mul_i32 s18, s2, s15
	s_mul_hi_i32 s17, s14, s16
	s_mul_i32 s16, s14, s16
	s_and_saveexec_b32 s14, vcc_lo
	s_cbranch_execz .LBB67_6
; %bb.1:
	s_clause 0x1
	s_load_b32 s26, s[0:1], 0x18
	s_load_b128 s[0:3], s[0:1], 0x8
	s_sub_i32 s19, 1, s20
	s_mul_i32 s25, s4, s24
	s_mul_hi_u32 s29, s4, s15
	s_mul_i32 s5, s5, s15
	s_mul_i32 s4, s4, s15
	v_add3_u32 v8, v7, 0, 0x200
	v_mov_b32_e32 v4, v0
	s_delay_alu instid0(VALU_DEP_2)
	v_mov_b32_e32 v3, v8
	s_waitcnt lgkmcnt(0)
	s_ashr_i32 s27, s26, 31
	v_mad_i64_i32 v[1:2], null, s26, v0, 0
	v_cmp_lt_i64_e64 s28, s[26:27], 1
	s_mul_i32 s19, s19, s26
	s_delay_alu instid0(VALU_DEP_1)
	s_and_b32 s28, s28, exec_lo
	s_cselect_b32 s28, s19, 0
	s_add_i32 s19, s29, s25
	s_ashr_i32 s29, s28, 31
	s_add_i32 s5, s19, s5
	s_lshl_b64 s[28:29], s[28:29], 4
	s_lshl_b64 s[2:3], s[2:3], 4
	;; [unrolled: 1-line block ×3, first 2 shown]
	v_lshlrev_b64 v[1:2], 4, v[1:2]
	s_add_u32 s0, s0, s28
	s_addc_u32 s1, s1, s29
	s_add_u32 s0, s0, s2
	s_addc_u32 s1, s1, s3
	;; [unrolled: 2-line block ×3, first 2 shown]
	v_add_co_u32 v1, s0, s0, v1
	s_delay_alu instid0(VALU_DEP_1)
	v_add_co_ci_u32_e64 v2, s0, s1, v2, s0
	s_mov_b32 s4, 0
	s_lshl_b64 s[2:3], s[26:27], 14
	.p2align	6
.LBB67_2:                               ; =>This Inner Loop Header: Depth=1
	global_load_b128 v[9:12], v[1:2], off
	v_add_nc_u32_e32 v4, 0x400, v4
	v_add_co_u32 v1, s0, v1, s2
	s_delay_alu instid0(VALU_DEP_1) | instskip(NEXT) | instid1(VALU_DEP_3)
	v_add_co_ci_u32_e64 v2, s0, s3, v2, s0
	v_cmp_le_i32_e64 s1, s20, v4
	s_delay_alu instid0(VALU_DEP_1)
	s_or_b32 s4, s1, s4
	s_waitcnt vmcnt(0)
	ds_store_2addr_b64 v3, v[9:10], v[11:12] offset1:1
	v_add_nc_u32_e32 v3, 0x4000, v3
	s_and_not1_b32 exec_lo, exec_lo, s4
	s_cbranch_execnz .LBB67_2
; %bb.3:
	s_or_b32 exec_lo, exec_lo, s4
	s_add_i32 s0, s22, s21
	v_lshlrev_b32_e32 v1, 4, v0
	s_add_i32 s19, s0, s23
	s_lshl_b64 s[0:1], s[16:17], 4
	s_lshl_b64 s[2:3], s[18:19], 4
	v_mov_b32_e32 v9, v0
	s_add_u32 s2, s2, s0
	s_addc_u32 s3, s3, s1
	s_lshl_b64 s[0:1], s[12:13], 4
	s_delay_alu instid0(SALU_CYCLE_1)
	s_add_u32 s0, s2, s0
	s_addc_u32 s1, s3, s1
	s_add_u32 s0, s10, s0
	s_addc_u32 s1, s11, s1
	v_add_co_u32 v3, s0, s0, v1
	v_mov_b32_e32 v1, 0
	v_add_co_ci_u32_e64 v4, null, s1, 0, s0
	v_mov_b32_e32 v2, 0
	s_delay_alu instid0(VALU_DEP_4) | instskip(NEXT) | instid1(VALU_DEP_1)
	v_add_co_u32 v5, s0, v3, 8
	v_add_co_ci_u32_e64 v6, s0, 0, v4, s0
	s_delay_alu instid0(VALU_DEP_3)
	v_dual_mov_b32 v4, v2 :: v_dual_mov_b32 v3, v1
	s_mov_b32 s2, 0
	.p2align	6
.LBB67_4:                               ; =>This Inner Loop Header: Depth=1
	global_load_b128 v[10:13], v[5:6], off offset:-8
	ds_load_2addr_b64 v[14:17], v8 offset1:1
	v_add_nc_u32_e32 v9, 0x400, v9
	v_add_co_u32 v5, s1, 0x4000, v5
	v_add_nc_u32_e32 v8, 0x4000, v8
	v_add_co_ci_u32_e64 v6, s1, 0, v6, s1
	s_delay_alu instid0(VALU_DEP_4) | instskip(NEXT) | instid1(VALU_DEP_1)
	v_cmp_le_i32_e64 s0, s20, v9
	s_or_b32 s2, s0, s2
	s_waitcnt vmcnt(0) lgkmcnt(0)
	v_mul_f64 v[18:19], v[12:13], v[16:17]
	v_mul_f64 v[12:13], v[12:13], v[14:15]
	s_delay_alu instid0(VALU_DEP_2) | instskip(NEXT) | instid1(VALU_DEP_2)
	v_fma_f64 v[14:15], v[10:11], v[14:15], v[18:19]
	v_fma_f64 v[10:11], v[10:11], v[16:17], -v[12:13]
	s_delay_alu instid0(VALU_DEP_2) | instskip(NEXT) | instid1(VALU_DEP_2)
	v_add_f64 v[3:4], v[3:4], v[14:15]
	v_add_f64 v[1:2], v[1:2], v[10:11]
	s_and_not1_b32 exec_lo, exec_lo, s2
	s_cbranch_execnz .LBB67_4
; %bb.5:
	s_or_b32 exec_lo, exec_lo, s2
.LBB67_6:
	s_delay_alu instid0(SALU_CYCLE_1) | instskip(SKIP_2) | instid1(VALU_DEP_1)
	s_or_b32 exec_lo, exec_lo, s14
	v_mbcnt_lo_u32_b32 v10, -1, 0
	s_mov_b32 s1, exec_lo
	v_cmp_ne_u32_e64 s0, 31, v10
	s_delay_alu instid0(VALU_DEP_1) | instskip(SKIP_1) | instid1(VALU_DEP_2)
	v_add_co_ci_u32_e64 v5, s0, 0, v10, s0
	v_cmp_gt_u32_e64 s0, 30, v10
	v_lshlrev_b32_e32 v9, 2, v5
	ds_bpermute_b32 v5, v9, v3
	ds_bpermute_b32 v6, v9, v4
	ds_bpermute_b32 v8, v9, v1
	ds_bpermute_b32 v9, v9, v2
	s_waitcnt lgkmcnt(2)
	v_add_f64 v[3:4], v[3:4], v[5:6]
	v_cndmask_b32_e64 v5, 0, 1, s0
	s_waitcnt lgkmcnt(0)
	v_add_f64 v[1:2], v[1:2], v[8:9]
	v_cmp_gt_u32_e64 s0, 28, v10
	s_delay_alu instid0(VALU_DEP_3) | instskip(NEXT) | instid1(VALU_DEP_1)
	v_lshlrev_b32_e32 v5, 1, v5
	v_add_lshl_u32 v9, v5, v10, 2
	ds_bpermute_b32 v5, v9, v3
	ds_bpermute_b32 v6, v9, v4
	ds_bpermute_b32 v8, v9, v1
	ds_bpermute_b32 v9, v9, v2
	s_waitcnt lgkmcnt(2)
	v_add_f64 v[3:4], v[3:4], v[5:6]
	v_cndmask_b32_e64 v5, 0, 1, s0
	s_waitcnt lgkmcnt(0)
	v_add_f64 v[1:2], v[1:2], v[8:9]
	v_cmp_gt_u32_e64 s0, 24, v10
	s_delay_alu instid0(VALU_DEP_3) | instskip(NEXT) | instid1(VALU_DEP_1)
	v_lshlrev_b32_e32 v5, 2, v5
	v_add_lshl_u32 v9, v5, v10, 2
	;; [unrolled: 13-line block ×3, first 2 shown]
	ds_bpermute_b32 v5, v9, v3
	ds_bpermute_b32 v6, v9, v4
	;; [unrolled: 1-line block ×4, first 2 shown]
	s_waitcnt lgkmcnt(2)
	v_add_f64 v[3:4], v[3:4], v[5:6]
	s_waitcnt lgkmcnt(0)
	v_add_f64 v[5:6], v[1:2], v[8:9]
	v_cndmask_b32_e64 v1, 0, 1, s0
	s_delay_alu instid0(VALU_DEP_1) | instskip(NEXT) | instid1(VALU_DEP_1)
	v_lshlrev_b32_e32 v1, 4, v1
	v_add_lshl_u32 v9, v1, v10, 2
	ds_bpermute_b32 v1, v9, v3
	ds_bpermute_b32 v2, v9, v4
	;; [unrolled: 1-line block ×4, first 2 shown]
	s_waitcnt lgkmcnt(2)
	v_add_f64 v[1:2], v[3:4], v[1:2]
	s_waitcnt lgkmcnt(0)
	v_add_f64 v[3:4], v[5:6], v[8:9]
	v_and_b32_e32 v5, 31, v0
	s_delay_alu instid0(VALU_DEP_1)
	v_cmpx_eq_u32_e32 0, v5
	s_cbranch_execz .LBB67_8
; %bb.7:
	v_lshrrev_b32_e32 v5, 1, v0
	s_delay_alu instid0(VALU_DEP_1)
	v_add_nc_u32_e32 v5, 0, v5
	ds_store_2addr_b64 v5, v[1:2], v[3:4] offset1:1
.LBB67_8:
	s_or_b32 exec_lo, exec_lo, s1
	s_delay_alu instid0(SALU_CYCLE_1)
	s_mov_b32 s1, exec_lo
	s_waitcnt lgkmcnt(0)
	s_barrier
	buffer_gl0_inv
	v_cmpx_eq_u32_e32 0, v0
	s_cbranch_execz .LBB67_10
; %bb.9:
	v_mov_b32_e32 v16, 0
	ds_load_2addr_b64 v[8:11], v16 offset0:2 offset1:3
	ds_load_2addr_b64 v[12:15], v16 offset0:4 offset1:5
	s_waitcnt lgkmcnt(1)
	v_add_f64 v[1:2], v[1:2], v[8:9]
	v_add_f64 v[3:4], v[3:4], v[10:11]
	s_waitcnt lgkmcnt(0)
	s_delay_alu instid0(VALU_DEP_2) | instskip(NEXT) | instid1(VALU_DEP_2)
	v_add_f64 v[5:6], v[1:2], v[12:13]
	v_add_f64 v[12:13], v[3:4], v[14:15]
	ds_load_2addr_b64 v[1:4], v16 offset0:6 offset1:7
	ds_load_2addr_b64 v[8:11], v16 offset0:8 offset1:9
	s_waitcnt lgkmcnt(1)
	v_add_f64 v[1:2], v[5:6], v[1:2]
	v_add_f64 v[3:4], v[12:13], v[3:4]
	s_waitcnt lgkmcnt(0)
	s_delay_alu instid0(VALU_DEP_2) | instskip(NEXT) | instid1(VALU_DEP_2)
	v_add_f64 v[5:6], v[1:2], v[8:9]
	v_add_f64 v[12:13], v[3:4], v[10:11]
	;; [unrolled: 9-line block ×15, first 2 shown]
	ds_load_2addr_b64 v[1:4], v16 offset0:62 offset1:63
	s_waitcnt lgkmcnt(0)
	v_add_f64 v[1:2], v[5:6], v[1:2]
	v_add_f64 v[3:4], v[8:9], v[3:4]
	ds_store_2addr_b64 v16, v[1:2], v[3:4] offset1:1
.LBB67_10:
	s_or_b32 exec_lo, exec_lo, s1
	s_waitcnt lgkmcnt(0)
	s_barrier
	buffer_gl0_inv
	s_and_saveexec_b32 s0, vcc_lo
	s_cbranch_execz .LBB67_13
; %bb.11:
	s_mul_i32 s0, s15, s9
	s_mul_hi_u32 s1, s15, s8
	s_mul_i32 s2, s24, s8
	s_add_i32 s0, s1, s0
	v_mov_b32_e32 v1, 0
	s_add_i32 s1, s0, s2
	s_mul_i32 s0, s15, s8
	s_delay_alu instid0(SALU_CYCLE_1)
	s_lshl_b64 s[0:1], s[0:1], 4
	ds_load_2addr_b64 v[1:4], v1 offset1:1
	s_add_u32 s0, s6, s0
	s_addc_u32 s1, s7, s1
	s_load_b128 s[0:3], s[0:1], 0x0
	s_waitcnt lgkmcnt(0)
	v_mul_f64 v[5:6], s[2:3], v[3:4]
	v_mul_f64 v[8:9], s[2:3], v[1:2]
	s_lshl_b64 s[2:3], s[16:17], 4
	s_delay_alu instid0(VALU_DEP_2) | instskip(NEXT) | instid1(VALU_DEP_2)
	v_fma_f64 v[1:2], v[1:2], -s[0:1], -v[5:6]
	v_fma_f64 v[3:4], s[0:1], v[3:4], -v[8:9]
	s_add_i32 s0, s22, s21
	s_delay_alu instid0(SALU_CYCLE_1) | instskip(NEXT) | instid1(SALU_CYCLE_1)
	s_add_i32 s19, s0, s23
	s_lshl_b64 s[0:1], s[18:19], 4
	s_delay_alu instid0(SALU_CYCLE_1) | instskip(SKIP_2) | instid1(SALU_CYCLE_1)
	s_add_u32 s2, s0, s2
	s_addc_u32 s3, s1, s3
	s_lshl_b64 s[0:1], s[12:13], 4
	s_add_u32 s0, s2, s0
	s_addc_u32 s1, s3, s1
	s_add_u32 s0, s10, s0
	s_addc_u32 s1, s11, s1
	v_add_co_u32 v5, s0, s0, v7
	s_delay_alu instid0(VALU_DEP_1) | instskip(SKIP_1) | instid1(VALU_DEP_3)
	v_add_co_ci_u32_e64 v6, null, s1, 0, s0
	v_add3_u32 v7, v7, 0, 0x200
	v_add_co_u32 v5, vcc_lo, v5, 8
	s_delay_alu instid0(VALU_DEP_3)
	v_add_co_ci_u32_e32 v6, vcc_lo, 0, v6, vcc_lo
	s_mov_b32 s1, 0
	.p2align	6
.LBB67_12:                              ; =>This Inner Loop Header: Depth=1
	global_load_b128 v[8:11], v[5:6], off offset:-8
	ds_load_2addr_b64 v[12:15], v7 offset1:1
	v_add_nc_u32_e32 v0, 0x400, v0
	v_add_nc_u32_e32 v7, 0x4000, v7
	s_delay_alu instid0(VALU_DEP_2) | instskip(SKIP_4) | instid1(VALU_DEP_2)
	v_cmp_le_i32_e32 vcc_lo, s20, v0
	s_or_b32 s1, vcc_lo, s1
	s_waitcnt lgkmcnt(0)
	v_mul_f64 v[16:17], v[3:4], v[14:15]
	v_mul_f64 v[14:15], v[1:2], v[14:15]
	v_fma_f64 v[16:17], v[1:2], v[12:13], -v[16:17]
	s_delay_alu instid0(VALU_DEP_2) | instskip(SKIP_1) | instid1(VALU_DEP_2)
	v_fma_f64 v[12:13], v[3:4], v[12:13], v[14:15]
	s_waitcnt vmcnt(0)
	v_add_f64 v[8:9], v[8:9], v[16:17]
	s_delay_alu instid0(VALU_DEP_2) | instskip(SKIP_2) | instid1(VALU_DEP_1)
	v_add_f64 v[10:11], v[10:11], v[12:13]
	global_store_b128 v[5:6], v[8:11], off offset:-8
	v_add_co_u32 v5, s0, 0x4000, v5
	v_add_co_ci_u32_e64 v6, s0, 0, v6, s0
	s_and_not1_b32 exec_lo, exec_lo, s1
	s_cbranch_execnz .LBB67_12
.LBB67_13:
	s_nop 0
	s_sendmsg sendmsg(MSG_DEALLOC_VGPRS)
	s_endpgm
	.section	.rodata,"a",@progbits
	.p2align	6, 0x0
	.amdhsa_kernel _ZN9rocsolver6v33100L16larf_left_kernelILi1024E19rocblas_complex_numIdEiPS3_EEvT1_S5_T2_lS5_lPKT0_lS6_lS5_l
		.amdhsa_group_segment_fixed_size 0
		.amdhsa_private_segment_fixed_size 0
		.amdhsa_kernarg_size 88
		.amdhsa_user_sgpr_count 13
		.amdhsa_user_sgpr_dispatch_ptr 0
		.amdhsa_user_sgpr_queue_ptr 0
		.amdhsa_user_sgpr_kernarg_segment_ptr 1
		.amdhsa_user_sgpr_dispatch_id 0
		.amdhsa_user_sgpr_private_segment_size 0
		.amdhsa_wavefront_size32 1
		.amdhsa_uses_dynamic_stack 0
		.amdhsa_enable_private_segment 0
		.amdhsa_system_sgpr_workgroup_id_x 1
		.amdhsa_system_sgpr_workgroup_id_y 1
		.amdhsa_system_sgpr_workgroup_id_z 1
		.amdhsa_system_sgpr_workgroup_info 0
		.amdhsa_system_vgpr_workitem_id 0
		.amdhsa_next_free_vgpr 20
		.amdhsa_next_free_sgpr 30
		.amdhsa_reserve_vcc 1
		.amdhsa_float_round_mode_32 0
		.amdhsa_float_round_mode_16_64 0
		.amdhsa_float_denorm_mode_32 3
		.amdhsa_float_denorm_mode_16_64 3
		.amdhsa_dx10_clamp 1
		.amdhsa_ieee_mode 1
		.amdhsa_fp16_overflow 0
		.amdhsa_workgroup_processor_mode 1
		.amdhsa_memory_ordered 1
		.amdhsa_forward_progress 0
		.amdhsa_shared_vgpr_count 0
		.amdhsa_exception_fp_ieee_invalid_op 0
		.amdhsa_exception_fp_denorm_src 0
		.amdhsa_exception_fp_ieee_div_zero 0
		.amdhsa_exception_fp_ieee_overflow 0
		.amdhsa_exception_fp_ieee_underflow 0
		.amdhsa_exception_fp_ieee_inexact 0
		.amdhsa_exception_int_div_zero 0
	.end_amdhsa_kernel
	.section	.text._ZN9rocsolver6v33100L16larf_left_kernelILi1024E19rocblas_complex_numIdEiPS3_EEvT1_S5_T2_lS5_lPKT0_lS6_lS5_l,"axG",@progbits,_ZN9rocsolver6v33100L16larf_left_kernelILi1024E19rocblas_complex_numIdEiPS3_EEvT1_S5_T2_lS5_lPKT0_lS6_lS5_l,comdat
.Lfunc_end67:
	.size	_ZN9rocsolver6v33100L16larf_left_kernelILi1024E19rocblas_complex_numIdEiPS3_EEvT1_S5_T2_lS5_lPKT0_lS6_lS5_l, .Lfunc_end67-_ZN9rocsolver6v33100L16larf_left_kernelILi1024E19rocblas_complex_numIdEiPS3_EEvT1_S5_T2_lS5_lPKT0_lS6_lS5_l
                                        ; -- End function
	.section	.AMDGPU.csdata,"",@progbits
; Kernel info:
; codeLenInByte = 2492
; NumSgprs: 32
; NumVgprs: 20
; ScratchSize: 0
; MemoryBound: 0
; FloatMode: 240
; IeeeMode: 1
; LDSByteSize: 0 bytes/workgroup (compile time only)
; SGPRBlocks: 3
; VGPRBlocks: 2
; NumSGPRsForWavesPerEU: 32
; NumVGPRsForWavesPerEU: 20
; Occupancy: 16
; WaveLimiterHint : 0
; COMPUTE_PGM_RSRC2:SCRATCH_EN: 0
; COMPUTE_PGM_RSRC2:USER_SGPR: 13
; COMPUTE_PGM_RSRC2:TRAP_HANDLER: 0
; COMPUTE_PGM_RSRC2:TGID_X_EN: 1
; COMPUTE_PGM_RSRC2:TGID_Y_EN: 1
; COMPUTE_PGM_RSRC2:TGID_Z_EN: 1
; COMPUTE_PGM_RSRC2:TIDIG_COMP_CNT: 0
	.section	.text._ZN9rocsolver6v33100L17larf_right_kernelILi1024E19rocblas_complex_numIdEiPS3_EEvT1_S5_T2_lS5_lPKT0_lS6_lS5_l,"axG",@progbits,_ZN9rocsolver6v33100L17larf_right_kernelILi1024E19rocblas_complex_numIdEiPS3_EEvT1_S5_T2_lS5_lPKT0_lS6_lS5_l,comdat
	.globl	_ZN9rocsolver6v33100L17larf_right_kernelILi1024E19rocblas_complex_numIdEiPS3_EEvT1_S5_T2_lS5_lPKT0_lS6_lS5_l ; -- Begin function _ZN9rocsolver6v33100L17larf_right_kernelILi1024E19rocblas_complex_numIdEiPS3_EEvT1_S5_T2_lS5_lPKT0_lS6_lS5_l
	.p2align	8
	.type	_ZN9rocsolver6v33100L17larf_right_kernelILi1024E19rocblas_complex_numIdEiPS3_EEvT1_S5_T2_lS5_lPKT0_lS6_lS5_l,@function
_ZN9rocsolver6v33100L17larf_right_kernelILi1024E19rocblas_complex_numIdEiPS3_EEvT1_S5_T2_lS5_lPKT0_lS6_lS5_l: ; @_ZN9rocsolver6v33100L17larf_right_kernelILi1024E19rocblas_complex_numIdEiPS3_EEvT1_S5_T2_lS5_lPKT0_lS6_lS5_l
; %bb.0:
	s_clause 0x4
	s_load_b32 s24, s[0:1], 0x4
	s_load_b64 s[16:17], s[0:1], 0x50
	s_load_b64 s[20:21], s[0:1], 0x40
	s_load_b32 s12, s[0:1], 0x48
	s_load_b256 s[4:11], s[0:1], 0x20
	v_mov_b32_e32 v1, 0
	v_dual_mov_b32 v2, 0 :: v_dual_lshlrev_b32 v7, 4, v0
	s_mov_b32 s2, s15
	s_ashr_i32 s27, s15, 31
	s_ashr_i32 s15, s14, 31
	s_delay_alu instid0(VALU_DEP_1)
	v_dual_mov_b32 v4, v2 :: v_dual_mov_b32 v3, v1
	s_waitcnt lgkmcnt(0)
	v_cmp_gt_i32_e32 vcc_lo, s24, v0
	s_mul_i32 s3, s16, s27
	s_mul_hi_u32 s25, s16, s2
	s_mul_i32 s26, s17, s2
	s_mul_i32 s22, s16, s2
	s_and_saveexec_b32 s28, vcc_lo
	s_cbranch_execz .LBB68_6
; %bb.1:
	s_clause 0x1
	s_load_b32 s30, s[0:1], 0x18
	s_load_b128 s[16:19], s[0:1], 0x8
	s_sub_i32 s1, 1, s24
	s_mul_i32 s13, s4, s27
	s_mul_hi_u32 s29, s4, s2
	s_mul_i32 s0, s4, s2
	s_mul_i32 s33, s5, s2
	v_add3_u32 v8, v7, 0, 0x200
	v_mov_b32_e32 v4, v0
	s_delay_alu instid0(VALU_DEP_2)
	v_mov_b32_e32 v3, v8
	s_waitcnt lgkmcnt(0)
	s_ashr_i32 s31, s30, 31
	v_mad_i64_i32 v[1:2], null, s30, v0, 0
	v_cmp_lt_i64_e64 s23, s[30:31], 1
	s_mul_i32 s1, s1, s30
	s_delay_alu instid0(VALU_DEP_1)
	s_and_b32 s4, s23, exec_lo
	s_cselect_b32 s4, s1, 0
	s_add_i32 s1, s29, s13
	s_ashr_i32 s5, s4, 31
	s_add_i32 s1, s1, s33
	s_lshl_b64 s[4:5], s[4:5], 4
	s_lshl_b64 s[18:19], s[18:19], 4
	;; [unrolled: 1-line block ×3, first 2 shown]
	v_lshlrev_b64 v[1:2], 4, v[1:2]
	s_add_u32 s4, s16, s4
	s_addc_u32 s5, s17, s5
	s_add_u32 s4, s4, s18
	s_addc_u32 s5, s5, s19
	;; [unrolled: 2-line block ×3, first 2 shown]
	v_add_co_u32 v1, s0, s0, v1
	s_delay_alu instid0(VALU_DEP_1)
	v_add_co_ci_u32_e64 v2, s0, s1, v2, s0
	s_mov_b32 s13, 0
	s_lshl_b64 s[4:5], s[30:31], 14
	.p2align	6
.LBB68_2:                               ; =>This Inner Loop Header: Depth=1
	global_load_b128 v[9:12], v[1:2], off
	v_add_nc_u32_e32 v4, 0x400, v4
	v_add_co_u32 v1, s0, v1, s4
	s_delay_alu instid0(VALU_DEP_1) | instskip(NEXT) | instid1(VALU_DEP_3)
	v_add_co_ci_u32_e64 v2, s0, s5, v2, s0
	v_cmp_le_i32_e64 s1, s24, v4
	s_delay_alu instid0(VALU_DEP_1)
	s_or_b32 s13, s1, s13
	s_waitcnt vmcnt(0)
	ds_store_2addr_b64 v3, v[9:10], v[11:12] offset1:1
	v_add_nc_u32_e32 v3, 0x4000, v3
	s_and_not1_b32 exec_lo, exec_lo, s13
	s_cbranch_execnz .LBB68_2
; %bb.3:
	s_or_b32 exec_lo, exec_lo, s13
	v_mad_i64_i32 v[1:2], null, s12, v0, 0
	s_add_i32 s4, s25, s3
	s_ashr_i32 s13, s12, 31
	s_add_i32 s23, s4, s26
	s_lshl_b64 s[4:5], s[14:15], 4
	s_lshl_b64 s[0:1], s[20:21], 4
	;; [unrolled: 1-line block ×3, first 2 shown]
	s_delay_alu instid0(VALU_DEP_1)
	v_lshlrev_b64 v[1:2], 4, v[1:2]
	s_add_u32 s4, s10, s4
	s_addc_u32 s5, s11, s5
	s_add_u32 s0, s4, s0
	s_addc_u32 s1, s5, s1
	;; [unrolled: 2-line block ×3, first 2 shown]
	v_add_co_u32 v3, s0, s0, v1
	s_delay_alu instid0(VALU_DEP_1) | instskip(SKIP_2) | instid1(VALU_DEP_4)
	v_add_co_ci_u32_e64 v4, s0, s1, v2, s0
	v_mov_b32_e32 v1, 0
	v_dual_mov_b32 v2, 0 :: v_dual_mov_b32 v9, v0
	v_add_co_u32 v5, s0, v3, 8
	s_delay_alu instid0(VALU_DEP_1) | instskip(NEXT) | instid1(VALU_DEP_3)
	v_add_co_ci_u32_e64 v6, s0, 0, v4, s0
	v_dual_mov_b32 v4, v2 :: v_dual_mov_b32 v3, v1
	s_lshl_b64 s[4:5], s[12:13], 14
	s_mov_b32 s13, 0
	.p2align	6
.LBB68_4:                               ; =>This Inner Loop Header: Depth=1
	global_load_b128 v[10:13], v[5:6], off offset:-8
	ds_load_2addr_b64 v[14:17], v8 offset1:1
	v_add_nc_u32_e32 v9, 0x400, v9
	v_add_co_u32 v5, s1, v5, s4
	v_add_nc_u32_e32 v8, 0x4000, v8
	v_add_co_ci_u32_e64 v6, s1, s5, v6, s1
	s_delay_alu instid0(VALU_DEP_4) | instskip(NEXT) | instid1(VALU_DEP_1)
	v_cmp_le_i32_e64 s0, s24, v9
	s_or_b32 s13, s0, s13
	s_waitcnt vmcnt(0) lgkmcnt(0)
	v_mul_f64 v[18:19], v[16:17], v[12:13]
	v_mul_f64 v[12:13], v[14:15], v[12:13]
	s_delay_alu instid0(VALU_DEP_2) | instskip(NEXT) | instid1(VALU_DEP_2)
	v_fma_f64 v[14:15], v[14:15], v[10:11], -v[18:19]
	v_fma_f64 v[10:11], v[16:17], v[10:11], v[12:13]
	s_delay_alu instid0(VALU_DEP_2) | instskip(NEXT) | instid1(VALU_DEP_2)
	v_add_f64 v[3:4], v[3:4], v[14:15]
	v_add_f64 v[1:2], v[1:2], v[10:11]
	s_and_not1_b32 exec_lo, exec_lo, s13
	s_cbranch_execnz .LBB68_4
; %bb.5:
	s_or_b32 exec_lo, exec_lo, s13
.LBB68_6:
	s_delay_alu instid0(SALU_CYCLE_1) | instskip(SKIP_2) | instid1(VALU_DEP_1)
	s_or_b32 exec_lo, exec_lo, s28
	v_mbcnt_lo_u32_b32 v10, -1, 0
	s_mov_b32 s1, exec_lo
	v_cmp_ne_u32_e64 s0, 31, v10
	s_delay_alu instid0(VALU_DEP_1) | instskip(SKIP_1) | instid1(VALU_DEP_2)
	v_add_co_ci_u32_e64 v5, s0, 0, v10, s0
	v_cmp_gt_u32_e64 s0, 30, v10
	v_lshlrev_b32_e32 v9, 2, v5
	ds_bpermute_b32 v5, v9, v3
	ds_bpermute_b32 v6, v9, v4
	ds_bpermute_b32 v8, v9, v1
	ds_bpermute_b32 v9, v9, v2
	s_waitcnt lgkmcnt(2)
	v_add_f64 v[3:4], v[3:4], v[5:6]
	v_cndmask_b32_e64 v5, 0, 1, s0
	s_waitcnt lgkmcnt(0)
	v_add_f64 v[1:2], v[1:2], v[8:9]
	v_cmp_gt_u32_e64 s0, 28, v10
	s_delay_alu instid0(VALU_DEP_3) | instskip(NEXT) | instid1(VALU_DEP_1)
	v_lshlrev_b32_e32 v5, 1, v5
	v_add_lshl_u32 v9, v5, v10, 2
	ds_bpermute_b32 v5, v9, v3
	ds_bpermute_b32 v6, v9, v4
	ds_bpermute_b32 v8, v9, v1
	ds_bpermute_b32 v9, v9, v2
	s_waitcnt lgkmcnt(2)
	v_add_f64 v[3:4], v[3:4], v[5:6]
	v_cndmask_b32_e64 v5, 0, 1, s0
	s_waitcnt lgkmcnt(0)
	v_add_f64 v[1:2], v[1:2], v[8:9]
	v_cmp_gt_u32_e64 s0, 24, v10
	s_delay_alu instid0(VALU_DEP_3) | instskip(NEXT) | instid1(VALU_DEP_1)
	v_lshlrev_b32_e32 v5, 2, v5
	v_add_lshl_u32 v9, v5, v10, 2
	;; [unrolled: 13-line block ×3, first 2 shown]
	ds_bpermute_b32 v5, v9, v3
	ds_bpermute_b32 v6, v9, v4
	;; [unrolled: 1-line block ×4, first 2 shown]
	s_waitcnt lgkmcnt(2)
	v_add_f64 v[3:4], v[3:4], v[5:6]
	s_waitcnt lgkmcnt(0)
	v_add_f64 v[5:6], v[1:2], v[8:9]
	v_cndmask_b32_e64 v1, 0, 1, s0
	s_delay_alu instid0(VALU_DEP_1) | instskip(NEXT) | instid1(VALU_DEP_1)
	v_lshlrev_b32_e32 v1, 4, v1
	v_add_lshl_u32 v9, v1, v10, 2
	ds_bpermute_b32 v1, v9, v3
	ds_bpermute_b32 v2, v9, v4
	;; [unrolled: 1-line block ×4, first 2 shown]
	s_waitcnt lgkmcnt(2)
	v_add_f64 v[1:2], v[3:4], v[1:2]
	s_waitcnt lgkmcnt(0)
	v_add_f64 v[3:4], v[5:6], v[8:9]
	v_and_b32_e32 v5, 31, v0
	s_delay_alu instid0(VALU_DEP_1)
	v_cmpx_eq_u32_e32 0, v5
	s_cbranch_execz .LBB68_8
; %bb.7:
	v_lshrrev_b32_e32 v5, 1, v0
	s_delay_alu instid0(VALU_DEP_1)
	v_add_nc_u32_e32 v5, 0, v5
	ds_store_2addr_b64 v5, v[1:2], v[3:4] offset1:1
.LBB68_8:
	s_or_b32 exec_lo, exec_lo, s1
	s_delay_alu instid0(SALU_CYCLE_1)
	s_mov_b32 s1, exec_lo
	s_waitcnt lgkmcnt(0)
	s_barrier
	buffer_gl0_inv
	v_cmpx_eq_u32_e32 0, v0
	s_cbranch_execz .LBB68_10
; %bb.9:
	v_mov_b32_e32 v16, 0
	ds_load_2addr_b64 v[8:11], v16 offset0:2 offset1:3
	ds_load_2addr_b64 v[12:15], v16 offset0:4 offset1:5
	s_waitcnt lgkmcnt(1)
	v_add_f64 v[1:2], v[1:2], v[8:9]
	v_add_f64 v[3:4], v[3:4], v[10:11]
	s_waitcnt lgkmcnt(0)
	s_delay_alu instid0(VALU_DEP_2) | instskip(NEXT) | instid1(VALU_DEP_2)
	v_add_f64 v[5:6], v[1:2], v[12:13]
	v_add_f64 v[12:13], v[3:4], v[14:15]
	ds_load_2addr_b64 v[1:4], v16 offset0:6 offset1:7
	ds_load_2addr_b64 v[8:11], v16 offset0:8 offset1:9
	s_waitcnt lgkmcnt(1)
	v_add_f64 v[1:2], v[5:6], v[1:2]
	v_add_f64 v[3:4], v[12:13], v[3:4]
	s_waitcnt lgkmcnt(0)
	s_delay_alu instid0(VALU_DEP_2) | instskip(NEXT) | instid1(VALU_DEP_2)
	v_add_f64 v[5:6], v[1:2], v[8:9]
	v_add_f64 v[12:13], v[3:4], v[10:11]
	;; [unrolled: 9-line block ×15, first 2 shown]
	ds_load_2addr_b64 v[1:4], v16 offset0:62 offset1:63
	s_waitcnt lgkmcnt(0)
	v_add_f64 v[1:2], v[5:6], v[1:2]
	v_add_f64 v[3:4], v[8:9], v[3:4]
	ds_store_2addr_b64 v16, v[1:2], v[3:4] offset1:1
.LBB68_10:
	s_or_b32 exec_lo, exec_lo, s1
	s_waitcnt lgkmcnt(0)
	s_barrier
	buffer_gl0_inv
	s_and_saveexec_b32 s0, vcc_lo
	s_cbranch_execz .LBB68_13
; %bb.11:
	s_mul_i32 s0, s2, s9
	s_mul_hi_u32 s1, s2, s8
	s_mul_i32 s4, s27, s8
	s_add_i32 s0, s1, s0
	v_mov_b32_e32 v1, 0
	s_add_i32 s1, s0, s4
	s_mul_i32 s0, s2, s8
	v_add3_u32 v7, v7, 0, 0x200
	s_lshl_b64 s[0:1], s[0:1], 4
	ds_load_2addr_b64 v[3:6], v1 offset1:1
	s_add_u32 s0, s6, s0
	s_addc_u32 s1, s7, s1
	s_ashr_i32 s13, s12, 31
	s_load_b128 s[4:7], s[0:1], 0x0
	s_add_i32 s0, s25, s3
	s_lshl_b64 s[2:3], s[14:15], 4
	s_add_i32 s23, s0, s26
	s_delay_alu instid0(SALU_CYCLE_1)
	s_lshl_b64 s[0:1], s[22:23], 4
	s_waitcnt lgkmcnt(0)
	v_mul_f64 v[1:2], s[4:5], v[3:4]
	v_mul_f64 v[8:9], s[4:5], v[5:6]
	s_lshl_b64 s[4:5], s[20:21], 4
	s_add_u32 s2, s10, s2
	s_addc_u32 s3, s11, s3
	s_add_u32 s2, s2, s4
	s_addc_u32 s3, s3, s5
	;; [unrolled: 2-line block ×3, first 2 shown]
	s_lshl_b64 s[2:3], s[12:13], 14
	s_delay_alu instid0(VALU_DEP_2) | instskip(NEXT) | instid1(VALU_DEP_2)
	v_fma_f64 v[1:2], s[6:7], v[5:6], -v[1:2]
	v_fma_f64 v[3:4], v[3:4], -s[6:7], -v[8:9]
	v_mad_i64_i32 v[5:6], null, s12, v0, 0
	s_delay_alu instid0(VALU_DEP_1) | instskip(NEXT) | instid1(VALU_DEP_1)
	v_lshlrev_b64 v[5:6], 4, v[5:6]
	v_add_co_u32 v5, vcc_lo, s0, v5
	s_delay_alu instid0(VALU_DEP_2) | instskip(SKIP_1) | instid1(VALU_DEP_2)
	v_add_co_ci_u32_e32 v6, vcc_lo, s1, v6, vcc_lo
	s_mov_b32 s1, 0
	v_add_co_u32 v5, vcc_lo, v5, 8
	s_delay_alu instid0(VALU_DEP_2)
	v_add_co_ci_u32_e32 v6, vcc_lo, 0, v6, vcc_lo
	.p2align	6
.LBB68_12:                              ; =>This Inner Loop Header: Depth=1
	global_load_b128 v[8:11], v[5:6], off offset:-8
	ds_load_2addr_b64 v[12:15], v7 offset1:1
	v_add_nc_u32_e32 v0, 0x400, v0
	v_add_nc_u32_e32 v7, 0x4000, v7
	s_delay_alu instid0(VALU_DEP_2) | instskip(SKIP_4) | instid1(VALU_DEP_2)
	v_cmp_le_i32_e32 vcc_lo, s24, v0
	s_or_b32 s1, vcc_lo, s1
	s_waitcnt lgkmcnt(0)
	v_mul_f64 v[16:17], v[3:4], v[14:15]
	v_mul_f64 v[14:15], v[1:2], v[14:15]
	v_fma_f64 v[16:17], v[1:2], v[12:13], v[16:17]
	s_delay_alu instid0(VALU_DEP_2) | instskip(SKIP_1) | instid1(VALU_DEP_2)
	v_fma_f64 v[12:13], v[3:4], v[12:13], -v[14:15]
	s_waitcnt vmcnt(0)
	v_add_f64 v[8:9], v[8:9], v[16:17]
	s_delay_alu instid0(VALU_DEP_2) | instskip(SKIP_2) | instid1(VALU_DEP_1)
	v_add_f64 v[10:11], v[10:11], v[12:13]
	global_store_b128 v[5:6], v[8:11], off offset:-8
	v_add_co_u32 v5, s0, v5, s2
	v_add_co_ci_u32_e64 v6, s0, s3, v6, s0
	s_and_not1_b32 exec_lo, exec_lo, s1
	s_cbranch_execnz .LBB68_12
.LBB68_13:
	s_nop 0
	s_sendmsg sendmsg(MSG_DEALLOC_VGPRS)
	s_endpgm
	.section	.rodata,"a",@progbits
	.p2align	6, 0x0
	.amdhsa_kernel _ZN9rocsolver6v33100L17larf_right_kernelILi1024E19rocblas_complex_numIdEiPS3_EEvT1_S5_T2_lS5_lPKT0_lS6_lS5_l
		.amdhsa_group_segment_fixed_size 0
		.amdhsa_private_segment_fixed_size 0
		.amdhsa_kernarg_size 88
		.amdhsa_user_sgpr_count 13
		.amdhsa_user_sgpr_dispatch_ptr 0
		.amdhsa_user_sgpr_queue_ptr 0
		.amdhsa_user_sgpr_kernarg_segment_ptr 1
		.amdhsa_user_sgpr_dispatch_id 0
		.amdhsa_user_sgpr_private_segment_size 0
		.amdhsa_wavefront_size32 1
		.amdhsa_uses_dynamic_stack 0
		.amdhsa_enable_private_segment 0
		.amdhsa_system_sgpr_workgroup_id_x 1
		.amdhsa_system_sgpr_workgroup_id_y 1
		.amdhsa_system_sgpr_workgroup_id_z 1
		.amdhsa_system_sgpr_workgroup_info 0
		.amdhsa_system_vgpr_workitem_id 0
		.amdhsa_next_free_vgpr 20
		.amdhsa_next_free_sgpr 34
		.amdhsa_reserve_vcc 1
		.amdhsa_float_round_mode_32 0
		.amdhsa_float_round_mode_16_64 0
		.amdhsa_float_denorm_mode_32 3
		.amdhsa_float_denorm_mode_16_64 3
		.amdhsa_dx10_clamp 1
		.amdhsa_ieee_mode 1
		.amdhsa_fp16_overflow 0
		.amdhsa_workgroup_processor_mode 1
		.amdhsa_memory_ordered 1
		.amdhsa_forward_progress 0
		.amdhsa_shared_vgpr_count 0
		.amdhsa_exception_fp_ieee_invalid_op 0
		.amdhsa_exception_fp_denorm_src 0
		.amdhsa_exception_fp_ieee_div_zero 0
		.amdhsa_exception_fp_ieee_overflow 0
		.amdhsa_exception_fp_ieee_underflow 0
		.amdhsa_exception_fp_ieee_inexact 0
		.amdhsa_exception_int_div_zero 0
	.end_amdhsa_kernel
	.section	.text._ZN9rocsolver6v33100L17larf_right_kernelILi1024E19rocblas_complex_numIdEiPS3_EEvT1_S5_T2_lS5_lPKT0_lS6_lS5_l,"axG",@progbits,_ZN9rocsolver6v33100L17larf_right_kernelILi1024E19rocblas_complex_numIdEiPS3_EEvT1_S5_T2_lS5_lPKT0_lS6_lS5_l,comdat
.Lfunc_end68:
	.size	_ZN9rocsolver6v33100L17larf_right_kernelILi1024E19rocblas_complex_numIdEiPS3_EEvT1_S5_T2_lS5_lPKT0_lS6_lS5_l, .Lfunc_end68-_ZN9rocsolver6v33100L17larf_right_kernelILi1024E19rocblas_complex_numIdEiPS3_EEvT1_S5_T2_lS5_lPKT0_lS6_lS5_l
                                        ; -- End function
	.section	.AMDGPU.csdata,"",@progbits
; Kernel info:
; codeLenInByte = 2520
; NumSgprs: 36
; NumVgprs: 20
; ScratchSize: 0
; MemoryBound: 0
; FloatMode: 240
; IeeeMode: 1
; LDSByteSize: 0 bytes/workgroup (compile time only)
; SGPRBlocks: 4
; VGPRBlocks: 2
; NumSGPRsForWavesPerEU: 36
; NumVGPRsForWavesPerEU: 20
; Occupancy: 16
; WaveLimiterHint : 0
; COMPUTE_PGM_RSRC2:SCRATCH_EN: 0
; COMPUTE_PGM_RSRC2:USER_SGPR: 13
; COMPUTE_PGM_RSRC2:TRAP_HANDLER: 0
; COMPUTE_PGM_RSRC2:TGID_X_EN: 1
; COMPUTE_PGM_RSRC2:TGID_Y_EN: 1
; COMPUTE_PGM_RSRC2:TGID_Z_EN: 1
; COMPUTE_PGM_RSRC2:TIDIG_COMP_CNT: 0
	.section	.text._ZN9rocsolver6v33100L12restore_diagI19rocblas_complex_numIdEidPS3_EEvPT1_llT2_lT0_lS8_,"axG",@progbits,_ZN9rocsolver6v33100L12restore_diagI19rocblas_complex_numIdEidPS3_EEvPT1_llT2_lT0_lS8_,comdat
	.globl	_ZN9rocsolver6v33100L12restore_diagI19rocblas_complex_numIdEidPS3_EEvPT1_llT2_lT0_lS8_ ; -- Begin function _ZN9rocsolver6v33100L12restore_diagI19rocblas_complex_numIdEidPS3_EEvPT1_llT2_lT0_lS8_
	.p2align	8
	.type	_ZN9rocsolver6v33100L12restore_diagI19rocblas_complex_numIdEidPS3_EEvPT1_llT2_lT0_lS8_,@function
_ZN9rocsolver6v33100L12restore_diagI19rocblas_complex_numIdEidPS3_EEvPT1_llT2_lT0_lS8_: ; @_ZN9rocsolver6v33100L12restore_diagI19rocblas_complex_numIdEidPS3_EEvPT1_llT2_lT0_lS8_
; %bb.0:
	s_clause 0x1
	s_load_b32 s2, s[0:1], 0x4c
	s_load_b32 s3, s[0:1], 0x38
	v_bfe_u32 v2, v0, 10, 10
	s_waitcnt lgkmcnt(0)
	s_lshr_b32 s2, s2, 16
	s_delay_alu instid0(VALU_DEP_1) | instid1(SALU_CYCLE_1)
	v_mad_u64_u32 v[0:1], null, s15, s2, v[2:3]
	s_mov_b32 s2, exec_lo
	s_delay_alu instid0(VALU_DEP_1)
	v_cmpx_gt_i32_e64 s3, v0
	s_cbranch_execz .LBB69_2
; %bb.1:
	s_clause 0x3
	s_load_b64 s[2:3], s[0:1], 0x30
	s_load_b256 s[4:11], s[0:1], 0x0
	s_load_b32 s12, s[0:1], 0x28
	s_load_b64 s[0:1], s[0:1], 0x20
	s_ashr_i32 s13, s14, 31
	s_waitcnt lgkmcnt(0)
	s_mul_i32 s3, s14, s3
	s_mul_hi_u32 s15, s14, s2
	s_mul_i32 s16, s13, s2
	s_add_i32 s3, s15, s3
	s_mul_i32 s2, s14, s2
	s_add_i32 s3, s3, s16
	s_mul_i32 s9, s14, s9
	s_lshl_b64 s[2:3], s[2:3], 4
	s_mul_hi_u32 s15, s14, s8
	s_add_u32 s2, s10, s2
	s_addc_u32 s3, s11, s3
	s_lshl_b64 s[0:1], s[0:1], 4
	s_mul_i32 s13, s13, s8
	s_add_u32 s2, s2, s0
	v_mad_u64_u32 v[2:3], null, v0, s12, v[0:1]
	v_ashrrev_i32_e32 v1, 31, v0
	s_addc_u32 s3, s3, s1
	s_add_i32 s1, s15, s9
	s_mul_i32 s0, s14, s8
	s_add_i32 s1, s1, s13
	v_lshlrev_b64 v[0:1], 3, v[0:1]
	s_lshl_b64 s[0:1], s[0:1], 3
	v_ashrrev_i32_e32 v3, 31, v2
	s_add_u32 s4, s4, s0
	s_addc_u32 s5, s5, s1
	s_lshl_b64 s[0:1], s[6:7], 3
	s_delay_alu instid0(SALU_CYCLE_1)
	s_add_u32 s0, s4, s0
	s_addc_u32 s1, s5, s1
	v_add_co_u32 v0, vcc_lo, s0, v0
	v_add_co_ci_u32_e32 v1, vcc_lo, s1, v1, vcc_lo
	v_lshlrev_b64 v[3:4], 4, v[2:3]
	v_mov_b32_e32 v2, 0
	global_load_b64 v[0:1], v[0:1], off
	v_add_co_u32 v5, vcc_lo, s2, v3
	v_add_co_ci_u32_e32 v6, vcc_lo, s3, v4, vcc_lo
	v_mov_b32_e32 v3, v2
	s_waitcnt vmcnt(0)
	global_store_b128 v[5:6], v[0:3], off
.LBB69_2:
	s_nop 0
	s_sendmsg sendmsg(MSG_DEALLOC_VGPRS)
	s_endpgm
	.section	.rodata,"a",@progbits
	.p2align	6, 0x0
	.amdhsa_kernel _ZN9rocsolver6v33100L12restore_diagI19rocblas_complex_numIdEidPS3_EEvPT1_llT2_lT0_lS8_
		.amdhsa_group_segment_fixed_size 0
		.amdhsa_private_segment_fixed_size 0
		.amdhsa_kernarg_size 320
		.amdhsa_user_sgpr_count 14
		.amdhsa_user_sgpr_dispatch_ptr 0
		.amdhsa_user_sgpr_queue_ptr 0
		.amdhsa_user_sgpr_kernarg_segment_ptr 1
		.amdhsa_user_sgpr_dispatch_id 0
		.amdhsa_user_sgpr_private_segment_size 0
		.amdhsa_wavefront_size32 1
		.amdhsa_uses_dynamic_stack 0
		.amdhsa_enable_private_segment 0
		.amdhsa_system_sgpr_workgroup_id_x 1
		.amdhsa_system_sgpr_workgroup_id_y 1
		.amdhsa_system_sgpr_workgroup_id_z 0
		.amdhsa_system_sgpr_workgroup_info 0
		.amdhsa_system_vgpr_workitem_id 1
		.amdhsa_next_free_vgpr 7
		.amdhsa_next_free_sgpr 17
		.amdhsa_reserve_vcc 1
		.amdhsa_float_round_mode_32 0
		.amdhsa_float_round_mode_16_64 0
		.amdhsa_float_denorm_mode_32 3
		.amdhsa_float_denorm_mode_16_64 3
		.amdhsa_dx10_clamp 1
		.amdhsa_ieee_mode 1
		.amdhsa_fp16_overflow 0
		.amdhsa_workgroup_processor_mode 1
		.amdhsa_memory_ordered 1
		.amdhsa_forward_progress 0
		.amdhsa_shared_vgpr_count 0
		.amdhsa_exception_fp_ieee_invalid_op 0
		.amdhsa_exception_fp_denorm_src 0
		.amdhsa_exception_fp_ieee_div_zero 0
		.amdhsa_exception_fp_ieee_overflow 0
		.amdhsa_exception_fp_ieee_underflow 0
		.amdhsa_exception_fp_ieee_inexact 0
		.amdhsa_exception_int_div_zero 0
	.end_amdhsa_kernel
	.section	.text._ZN9rocsolver6v33100L12restore_diagI19rocblas_complex_numIdEidPS3_EEvPT1_llT2_lT0_lS8_,"axG",@progbits,_ZN9rocsolver6v33100L12restore_diagI19rocblas_complex_numIdEidPS3_EEvPT1_llT2_lT0_lS8_,comdat
.Lfunc_end69:
	.size	_ZN9rocsolver6v33100L12restore_diagI19rocblas_complex_numIdEidPS3_EEvPT1_llT2_lT0_lS8_, .Lfunc_end69-_ZN9rocsolver6v33100L12restore_diagI19rocblas_complex_numIdEidPS3_EEvPT1_llT2_lT0_lS8_
                                        ; -- End function
	.section	.AMDGPU.csdata,"",@progbits
; Kernel info:
; codeLenInByte = 308
; NumSgprs: 19
; NumVgprs: 7
; ScratchSize: 0
; MemoryBound: 0
; FloatMode: 240
; IeeeMode: 1
; LDSByteSize: 0 bytes/workgroup (compile time only)
; SGPRBlocks: 2
; VGPRBlocks: 0
; NumSGPRsForWavesPerEU: 19
; NumVGPRsForWavesPerEU: 7
; Occupancy: 16
; WaveLimiterHint : 0
; COMPUTE_PGM_RSRC2:SCRATCH_EN: 0
; COMPUTE_PGM_RSRC2:USER_SGPR: 14
; COMPUTE_PGM_RSRC2:TRAP_HANDLER: 0
; COMPUTE_PGM_RSRC2:TGID_X_EN: 1
; COMPUTE_PGM_RSRC2:TGID_Y_EN: 1
; COMPUTE_PGM_RSRC2:TGID_Z_EN: 0
; COMPUTE_PGM_RSRC2:TIDIG_COMP_CNT: 1
	.section	.text._ZN9rocsolver6v33100L14set_triangularI19rocblas_complex_numIdEPS3_TnNSt9enable_ifIX18rocblas_is_complexIT_EEiE4typeELi0EEEviiT0_iilPS6_lSA_il15rocblas_direct_15rocblas_storev_b,"axG",@progbits,_ZN9rocsolver6v33100L14set_triangularI19rocblas_complex_numIdEPS3_TnNSt9enable_ifIX18rocblas_is_complexIT_EEiE4typeELi0EEEviiT0_iilPS6_lSA_il15rocblas_direct_15rocblas_storev_b,comdat
	.globl	_ZN9rocsolver6v33100L14set_triangularI19rocblas_complex_numIdEPS3_TnNSt9enable_ifIX18rocblas_is_complexIT_EEiE4typeELi0EEEviiT0_iilPS6_lSA_il15rocblas_direct_15rocblas_storev_b ; -- Begin function _ZN9rocsolver6v33100L14set_triangularI19rocblas_complex_numIdEPS3_TnNSt9enable_ifIX18rocblas_is_complexIT_EEiE4typeELi0EEEviiT0_iilPS6_lSA_il15rocblas_direct_15rocblas_storev_b
	.p2align	8
	.type	_ZN9rocsolver6v33100L14set_triangularI19rocblas_complex_numIdEPS3_TnNSt9enable_ifIX18rocblas_is_complexIT_EEiE4typeELi0EEEviiT0_iilPS6_lSA_il15rocblas_direct_15rocblas_storev_b,@function
_ZN9rocsolver6v33100L14set_triangularI19rocblas_complex_numIdEPS3_TnNSt9enable_ifIX18rocblas_is_complexIT_EEiE4typeELi0EEEviiT0_iilPS6_lSA_il15rocblas_direct_15rocblas_storev_b: ; @_ZN9rocsolver6v33100L14set_triangularI19rocblas_complex_numIdEPS3_TnNSt9enable_ifIX18rocblas_is_complexIT_EEiE4typeELi0EEEviiT0_iilPS6_lSA_il15rocblas_direct_15rocblas_storev_b
; %bb.0:
	s_clause 0x1
	s_load_b32 s2, s[0:1], 0x64
	s_load_b64 s[16:17], s[0:1], 0x0
	v_and_b32_e32 v1, 0x3ff, v0
	v_bfe_u32 v2, v0, 10, 10
	s_waitcnt lgkmcnt(0)
	s_lshr_b32 s3, s2, 16
	s_and_b32 s2, s2, 0xffff
	s_delay_alu instid0(VALU_DEP_1) | instid1(SALU_CYCLE_1)
	v_mad_u64_u32 v[6:7], null, s13, s2, v[1:2]
	v_mad_u64_u32 v[0:1], null, s14, s3, v[2:3]
	s_mov_b32 s2, exec_lo
	s_delay_alu instid0(VALU_DEP_1) | instskip(NEXT) | instid1(VALU_DEP_1)
	v_max_u32_e32 v1, v6, v0
	v_cmpx_gt_u32_e64 s17, v1
	s_cbranch_execz .LBB70_36
; %bb.1:
	s_clause 0x2
	s_load_b256 s[4:11], s[0:1], 0x18
	s_load_b64 s[2:3], s[0:1], 0x40
	s_load_b32 s12, s[0:1], 0x38
	s_waitcnt lgkmcnt(0)
	s_mul_i32 s9, s15, s9
	s_mul_hi_u32 s13, s15, s8
	s_mul_i32 s8, s15, s8
	s_add_i32 s9, s13, s9
	s_mul_i32 s3, s15, s3
	s_lshl_b64 s[8:9], s[8:9], 4
	s_mul_hi_u32 s18, s15, s2
	s_add_u32 s13, s6, s8
	s_mul_i32 s2, s15, s2
	s_addc_u32 s14, s7, s9
	s_add_i32 s3, s18, s3
	s_delay_alu instid0(SALU_CYCLE_1) | instskip(NEXT) | instid1(SALU_CYCLE_1)
	s_lshl_b64 s[2:3], s[2:3], 4
	s_add_u32 s6, s10, s2
	s_addc_u32 s7, s11, s3
	s_mov_b32 s2, exec_lo
	v_cmpx_ne_u32_e64 v0, v6
	s_xor_b32 s18, exec_lo, s2
	s_cbranch_execz .LBB70_34
; %bb.2:
	s_clause 0x1
	s_load_b128 s[8:11], s[0:1], 0x8
	s_load_b128 s[0:3], s[0:1], 0x48
	s_waitcnt lgkmcnt(0)
	s_mul_i32 s3, s15, s5
	s_mul_hi_u32 s5, s15, s4
	s_mul_i32 s4, s15, s4
	s_add_i32 s5, s5, s3
	v_mov_b32_e32 v7, 0
	s_lshl_b64 s[4:5], s[4:5], 4
	s_ashr_i32 s21, s10, 31
	s_mov_b32 s20, s10
	s_add_u32 s3, s8, s4
	s_addc_u32 s8, s9, s5
	s_lshl_b64 s[4:5], s[20:21], 4
	s_delay_alu instid0(SALU_CYCLE_1) | instskip(SKIP_3) | instid1(SALU_CYCLE_1)
	s_add_u32 s3, s3, s4
	s_addc_u32 s4, s8, s5
	s_bitcmp1_b32 s2, 0
	s_cselect_b32 s2, -1, 0
	s_xor_b32 s2, s2, -1
	s_cmpk_lg_i32 s0, 0xab
	s_mov_b32 s0, -1
	s_cbranch_scc0 .LBB70_18
; %bb.3:
	s_mov_b32 s0, exec_lo
	v_cmpx_le_u32_e64 v0, v6
	s_xor_b32 s0, exec_lo, s0
	s_cbranch_execz .LBB70_5
; %bb.4:
	v_mad_u64_u32 v[2:3], null, v6, s12, 0
	s_ashr_i32 s5, s12, 31
	s_delay_alu instid0(VALU_DEP_1) | instskip(NEXT) | instid1(VALU_DEP_1)
	v_mov_b32_e32 v1, v3
	v_mad_u64_u32 v[3:4], null, v6, s5, v[1:2]
	v_mov_b32_e32 v1, 0
	s_delay_alu instid0(VALU_DEP_1) | instskip(NEXT) | instid1(VALU_DEP_3)
	v_lshlrev_b64 v[8:9], 4, v[0:1]
	v_lshlrev_b64 v[4:5], 4, v[2:3]
	v_mov_b32_e32 v2, v1
	v_mov_b32_e32 v3, v1
	s_delay_alu instid0(VALU_DEP_3) | instskip(NEXT) | instid1(VALU_DEP_4)
	v_add_co_u32 v10, vcc_lo, s6, v4
	v_add_co_ci_u32_e32 v5, vcc_lo, s7, v5, vcc_lo
	v_mov_b32_e32 v4, v1
	s_delay_alu instid0(VALU_DEP_3) | instskip(NEXT) | instid1(VALU_DEP_3)
	v_add_co_u32 v8, vcc_lo, v10, v8
	v_add_co_ci_u32_e32 v9, vcc_lo, v5, v9, vcc_lo
	v_mov_b32_e32 v5, v1
	global_store_b128 v[8:9], v[2:5], off
.LBB70_5:
	s_and_not1_saveexec_b32 s0, s0
	s_cbranch_execz .LBB70_17
; %bb.6:
	v_lshlrev_b64 v[1:2], 4, v[6:7]
	s_cmpk_lg_i32 s1, 0xb5
	s_mov_b32 s5, -1
	s_delay_alu instid0(VALU_DEP_1) | instskip(NEXT) | instid1(VALU_DEP_2)
	v_add_co_u32 v1, vcc_lo, s13, v1
	v_add_co_ci_u32_e32 v2, vcc_lo, s14, v2, vcc_lo
	global_load_b128 v[2:5], v[1:2], off
	s_cbranch_scc0 .LBB70_12
; %bb.7:
	v_mov_b32_e32 v1, 0
	s_and_not1_b32 vcc_lo, exec_lo, s2
	s_delay_alu instid0(VALU_DEP_1)
	v_lshlrev_b64 v[8:9], 4, v[0:1]
	s_cbranch_vccnz .LBB70_9
; %bb.8:
	s_sub_i32 s5, s16, s17
	v_mad_u64_u32 v[18:19], null, v6, s12, 0
	v_add_nc_u32_e32 v13, s5, v6
	s_ashr_i32 s5, s11, 31
	s_delay_alu instid0(VALU_DEP_1) | instskip(NEXT) | instid1(VALU_DEP_1)
	v_mad_u64_u32 v[10:11], null, v13, s11, 0
	v_mov_b32_e32 v1, v11
	s_waitcnt vmcnt(0)
	s_delay_alu instid0(VALU_DEP_1) | instskip(SKIP_1) | instid1(VALU_DEP_1)
	v_mad_u64_u32 v[11:12], null, v13, s5, v[1:2]
	s_ashr_i32 s5, s12, 31
	v_lshlrev_b64 v[10:11], 4, v[10:11]
	s_delay_alu instid0(VALU_DEP_1) | instskip(NEXT) | instid1(VALU_DEP_2)
	v_add_co_u32 v1, vcc_lo, s3, v10
	v_add_co_ci_u32_e32 v11, vcc_lo, s4, v11, vcc_lo
	s_delay_alu instid0(VALU_DEP_2) | instskip(NEXT) | instid1(VALU_DEP_2)
	v_add_co_u32 v10, vcc_lo, v1, v8
	v_add_co_ci_u32_e32 v11, vcc_lo, v11, v9, vcc_lo
	v_mov_b32_e32 v1, v19
	global_load_b128 v[10:13], v[10:11], off
	s_waitcnt vmcnt(0)
	v_mul_f64 v[14:15], v[2:3], v[10:11]
	v_mul_f64 v[16:17], v[2:3], v[12:13]
	s_delay_alu instid0(VALU_DEP_2) | instskip(NEXT) | instid1(VALU_DEP_2)
	v_fma_f64 v[12:13], v[4:5], v[12:13], -v[14:15]
	v_fma_f64 v[14:15], v[10:11], -v[4:5], -v[16:17]
	v_mad_u64_u32 v[10:11], null, v6, s5, v[1:2]
	s_mov_b32 s5, 0
	s_delay_alu instid0(VALU_DEP_1) | instskip(NEXT) | instid1(VALU_DEP_1)
	v_mov_b32_e32 v19, v10
	v_lshlrev_b64 v[10:11], 4, v[18:19]
	s_delay_alu instid0(VALU_DEP_1) | instskip(NEXT) | instid1(VALU_DEP_2)
	v_add_co_u32 v1, vcc_lo, s6, v10
	v_add_co_ci_u32_e32 v11, vcc_lo, s7, v11, vcc_lo
	s_delay_alu instid0(VALU_DEP_2) | instskip(NEXT) | instid1(VALU_DEP_2)
	v_add_co_u32 v10, vcc_lo, v1, v8
	v_add_co_ci_u32_e32 v11, vcc_lo, v11, v9, vcc_lo
	global_store_b128 v[10:11], v[12:15], off
.LBB70_9:
	s_and_not1_b32 vcc_lo, exec_lo, s5
	s_cbranch_vccnz .LBB70_11
; %bb.10:
	v_mad_u64_u32 v[10:11], null, v6, s12, 0
	s_sub_i32 s5, s16, s17
	s_delay_alu instid0(SALU_CYCLE_1) | instskip(SKIP_1) | instid1(VALU_DEP_2)
	v_add_nc_u32_e32 v16, s5, v6
	s_ashr_i32 s5, s12, 31
	v_mov_b32_e32 v1, v11
	s_delay_alu instid0(VALU_DEP_2) | instskip(NEXT) | instid1(VALU_DEP_1)
	v_mad_u64_u32 v[12:13], null, v16, s11, 0
	v_mov_b32_e32 v11, v13
	s_waitcnt vmcnt(0)
	s_delay_alu instid0(VALU_DEP_3)
	v_mad_u64_u32 v[13:14], null, v6, s5, v[1:2]
	s_ashr_i32 s5, s11, 31
	s_delay_alu instid0(VALU_DEP_2) | instid1(SALU_CYCLE_1)
	v_mad_u64_u32 v[14:15], null, v16, s5, v[11:12]
	s_delay_alu instid0(VALU_DEP_2) | instskip(NEXT) | instid1(VALU_DEP_2)
	v_mov_b32_e32 v11, v13
	v_mov_b32_e32 v13, v14
	s_delay_alu instid0(VALU_DEP_2) | instskip(NEXT) | instid1(VALU_DEP_2)
	v_lshlrev_b64 v[10:11], 4, v[10:11]
	v_lshlrev_b64 v[12:13], 4, v[12:13]
	s_delay_alu instid0(VALU_DEP_2) | instskip(NEXT) | instid1(VALU_DEP_3)
	v_add_co_u32 v1, vcc_lo, s6, v10
	v_add_co_ci_u32_e32 v10, vcc_lo, s7, v11, vcc_lo
	s_delay_alu instid0(VALU_DEP_3) | instskip(NEXT) | instid1(VALU_DEP_4)
	v_add_co_u32 v11, vcc_lo, s3, v12
	v_add_co_ci_u32_e32 v13, vcc_lo, s4, v13, vcc_lo
	s_delay_alu instid0(VALU_DEP_4) | instskip(NEXT) | instid1(VALU_DEP_4)
	v_add_co_u32 v16, vcc_lo, v1, v8
	v_add_co_ci_u32_e32 v17, vcc_lo, v10, v9, vcc_lo
	s_delay_alu instid0(VALU_DEP_4) | instskip(NEXT) | instid1(VALU_DEP_4)
	v_add_co_u32 v12, vcc_lo, v11, v8
	v_add_co_ci_u32_e32 v13, vcc_lo, v13, v9, vcc_lo
	global_load_b128 v[8:11], v[16:17], off
	global_load_b128 v[12:15], v[12:13], off
	s_waitcnt vmcnt(0)
	v_add_f64 v[12:13], v[12:13], v[8:9]
	v_add_f64 v[8:9], v[14:15], v[10:11]
	s_delay_alu instid0(VALU_DEP_2) | instskip(NEXT) | instid1(VALU_DEP_2)
	v_mul_f64 v[10:11], v[2:3], v[12:13]
	v_mul_f64 v[14:15], v[2:3], v[8:9]
	s_delay_alu instid0(VALU_DEP_2) | instskip(NEXT) | instid1(VALU_DEP_2)
	v_fma_f64 v[8:9], v[4:5], v[8:9], -v[10:11]
	v_fma_f64 v[10:11], v[12:13], -v[4:5], -v[14:15]
	global_store_b128 v[16:17], v[8:11], off
.LBB70_11:
	s_mov_b32 s5, 0
.LBB70_12:
	s_delay_alu instid0(SALU_CYCLE_1)
	s_and_not1_b32 vcc_lo, exec_lo, s5
	s_cbranch_vccnz .LBB70_17
; %bb.13:
	s_and_not1_b32 vcc_lo, exec_lo, s2
	s_mov_b32 s5, -1
	s_cbranch_vccnz .LBB70_15
; %bb.14:
	v_mad_u64_u32 v[8:9], null, v0, s11, 0
	s_ashr_i32 s5, s11, 31
	v_mad_u64_u32 v[17:18], null, v6, s12, 0
	s_delay_alu instid0(VALU_DEP_2) | instskip(SKIP_1) | instid1(VALU_DEP_1)
	v_dual_mov_b32 v12, 0 :: v_dual_mov_b32 v1, v9
	s_waitcnt vmcnt(0)
	v_mad_u64_u32 v[9:10], null, v0, s5, v[1:2]
	s_sub_i32 s5, s16, s17
	s_delay_alu instid0(SALU_CYCLE_1) | instskip(SKIP_1) | instid1(VALU_DEP_2)
	v_add_nc_u32_e32 v11, s5, v6
	s_ashr_i32 s5, s12, 31
	v_lshlrev_b64 v[8:9], 4, v[8:9]
	s_delay_alu instid0(VALU_DEP_2) | instskip(NEXT) | instid1(VALU_DEP_2)
	v_lshlrev_b64 v[10:11], 4, v[11:12]
	v_add_co_u32 v1, vcc_lo, s3, v8
	s_delay_alu instid0(VALU_DEP_3) | instskip(NEXT) | instid1(VALU_DEP_2)
	v_add_co_ci_u32_e32 v9, vcc_lo, s4, v9, vcc_lo
	v_add_co_u32 v8, vcc_lo, v1, v10
	s_delay_alu instid0(VALU_DEP_2)
	v_add_co_ci_u32_e32 v9, vcc_lo, v9, v11, vcc_lo
	v_mov_b32_e32 v1, v18
	global_load_b128 v[8:11], v[8:9], off
	s_waitcnt vmcnt(0)
	v_mul_f64 v[13:14], v[4:5], v[10:11]
	v_mul_f64 v[15:16], v[4:5], v[8:9]
	s_delay_alu instid0(VALU_DEP_2) | instskip(NEXT) | instid1(VALU_DEP_2)
	v_fma_f64 v[8:9], v[8:9], -v[2:3], -v[13:14]
	v_fma_f64 v[10:11], v[2:3], v[10:11], -v[15:16]
	v_mad_u64_u32 v[13:14], null, v6, s5, v[1:2]
	v_mov_b32_e32 v1, v12
	s_mov_b32 s5, 0
	s_delay_alu instid0(VALU_DEP_1) | instskip(NEXT) | instid1(VALU_DEP_3)
	v_lshlrev_b64 v[14:15], 4, v[0:1]
	v_mov_b32_e32 v18, v13
	s_delay_alu instid0(VALU_DEP_1) | instskip(NEXT) | instid1(VALU_DEP_1)
	v_lshlrev_b64 v[12:13], 4, v[17:18]
	v_add_co_u32 v1, vcc_lo, s6, v12
	s_delay_alu instid0(VALU_DEP_2) | instskip(NEXT) | instid1(VALU_DEP_2)
	v_add_co_ci_u32_e32 v13, vcc_lo, s7, v13, vcc_lo
	v_add_co_u32 v12, vcc_lo, v1, v14
	s_delay_alu instid0(VALU_DEP_2)
	v_add_co_ci_u32_e32 v13, vcc_lo, v13, v15, vcc_lo
	global_store_b128 v[12:13], v[8:11], off
.LBB70_15:
	s_and_not1_b32 vcc_lo, exec_lo, s5
	s_cbranch_vccnz .LBB70_17
; %bb.16:
	v_mad_u64_u32 v[8:9], null, v0, s11, 0
	v_mad_u64_u32 v[10:11], null, v6, s12, 0
	s_ashr_i32 s5, s11, 31
	s_delay_alu instid0(VALU_DEP_2) | instskip(NEXT) | instid1(VALU_DEP_2)
	v_mov_b32_e32 v1, v9
	v_mov_b32_e32 v9, v11
	s_waitcnt vmcnt(0)
	s_delay_alu instid0(VALU_DEP_2) | instskip(SKIP_2) | instid1(VALU_DEP_1)
	v_mad_u64_u32 v[11:12], null, v0, s5, v[1:2]
	v_mov_b32_e32 v1, 0
	s_ashr_i32 s5, s12, 31
	v_mov_b32_e32 v14, v1
	v_mad_u64_u32 v[12:13], null, v6, s5, v[9:10]
	s_delay_alu instid0(VALU_DEP_4) | instskip(SKIP_3) | instid1(VALU_DEP_3)
	v_mov_b32_e32 v9, v11
	s_sub_i32 s5, s16, s17
	v_lshlrev_b64 v[15:16], 4, v[0:1]
	v_add_nc_u32_e32 v13, s5, v6
	v_lshlrev_b64 v[8:9], 4, v[8:9]
	v_mov_b32_e32 v11, v12
	s_delay_alu instid0(VALU_DEP_3) | instskip(NEXT) | instid1(VALU_DEP_2)
	v_lshlrev_b64 v[12:13], 4, v[13:14]
	v_lshlrev_b64 v[10:11], 4, v[10:11]
	s_delay_alu instid0(VALU_DEP_4) | instskip(SKIP_1) | instid1(VALU_DEP_3)
	v_add_co_u32 v1, vcc_lo, s3, v8
	v_add_co_ci_u32_e32 v9, vcc_lo, s4, v9, vcc_lo
	v_add_co_u32 v10, vcc_lo, s6, v10
	s_delay_alu instid0(VALU_DEP_4) | instskip(NEXT) | instid1(VALU_DEP_4)
	v_add_co_ci_u32_e32 v11, vcc_lo, s7, v11, vcc_lo
	v_add_co_u32 v8, vcc_lo, v1, v12
	s_delay_alu instid0(VALU_DEP_4) | instskip(NEXT) | instid1(VALU_DEP_4)
	v_add_co_ci_u32_e32 v9, vcc_lo, v9, v13, vcc_lo
	v_add_co_u32 v17, vcc_lo, v10, v15
	s_delay_alu instid0(VALU_DEP_4)
	v_add_co_ci_u32_e32 v18, vcc_lo, v11, v16, vcc_lo
	global_load_b128 v[8:11], v[8:9], off
	global_load_b128 v[12:15], v[17:18], off
	s_waitcnt vmcnt(0)
	v_add_f64 v[8:9], v[8:9], v[12:13]
	v_add_f64 v[10:11], v[14:15], -v[10:11]
	s_delay_alu instid0(VALU_DEP_2) | instskip(NEXT) | instid1(VALU_DEP_2)
	v_mul_f64 v[12:13], v[2:3], v[8:9]
	v_mul_f64 v[14:15], v[2:3], v[10:11]
	s_delay_alu instid0(VALU_DEP_2) | instskip(NEXT) | instid1(VALU_DEP_2)
	v_fma_f64 v[1:2], v[4:5], v[10:11], -v[12:13]
	v_fma_f64 v[3:4], v[8:9], -v[4:5], -v[14:15]
	global_store_b128 v[17:18], v[1:4], off
.LBB70_17:
	s_or_b32 exec_lo, exec_lo, s0
	s_mov_b32 s0, 0
.LBB70_18:
	s_delay_alu instid0(SALU_CYCLE_1)
	s_and_not1_b32 vcc_lo, exec_lo, s0
	s_cbranch_vccnz .LBB70_34
; %bb.19:
	s_mov_b32 s0, exec_lo
	v_cmpx_ge_u32_e64 v0, v6
	s_xor_b32 s0, exec_lo, s0
	s_cbranch_execz .LBB70_21
; %bb.20:
	s_waitcnt vmcnt(0)
	v_mad_u64_u32 v[2:3], null, v6, s12, 0
	s_ashr_i32 s5, s12, 31
	s_delay_alu instid0(VALU_DEP_1) | instskip(NEXT) | instid1(VALU_DEP_1)
	v_mov_b32_e32 v1, v3
	v_mad_u64_u32 v[3:4], null, v6, s5, v[1:2]
	v_mov_b32_e32 v1, 0
	s_delay_alu instid0(VALU_DEP_1) | instskip(NEXT) | instid1(VALU_DEP_3)
	v_lshlrev_b64 v[4:5], 4, v[0:1]
	v_lshlrev_b64 v[2:3], 4, v[2:3]
	v_mov_b32_e32 v0, v1
	s_delay_alu instid0(VALU_DEP_2) | instskip(NEXT) | instid1(VALU_DEP_3)
	v_add_co_u32 v6, vcc_lo, s6, v2
	v_add_co_ci_u32_e32 v3, vcc_lo, s7, v3, vcc_lo
	v_mov_b32_e32 v2, v1
	s_delay_alu instid0(VALU_DEP_3) | instskip(NEXT) | instid1(VALU_DEP_3)
	v_add_co_u32 v4, vcc_lo, v6, v4
	v_add_co_ci_u32_e32 v5, vcc_lo, v3, v5, vcc_lo
	v_mov_b32_e32 v3, v1
                                        ; implicit-def: $vgpr6_vgpr7
	global_store_b128 v[4:5], v[0:3], off
                                        ; implicit-def: $vgpr0_vgpr1
.LBB70_21:
	s_and_not1_saveexec_b32 s0, s0
	s_cbranch_execz .LBB70_33
; %bb.22:
	v_lshlrev_b64 v[7:8], 4, v[6:7]
	s_cmpk_lg_i32 s1, 0xb5
	s_mov_b32 s1, -1
	s_delay_alu instid0(VALU_DEP_1) | instskip(SKIP_1) | instid1(VALU_DEP_2)
	v_add_co_u32 v1, vcc_lo, s13, v7
	s_waitcnt vmcnt(0)
	v_add_co_ci_u32_e32 v2, vcc_lo, s14, v8, vcc_lo
	global_load_b128 v[2:5], v[1:2], off
	v_cndmask_b32_e64 v1, 0, 1, s2
	s_delay_alu instid0(VALU_DEP_1)
	v_cmp_ne_u32_e32 vcc_lo, 1, v1
	s_cbranch_scc0 .LBB70_28
; %bb.23:
	v_mov_b32_e32 v1, 0
	s_and_b32 vcc_lo, exec_lo, vcc_lo
	s_delay_alu instid0(VALU_DEP_1)
	v_lshlrev_b64 v[9:10], 4, v[0:1]
	s_cbranch_vccnz .LBB70_25
; %bb.24:
	v_mad_u64_u32 v[11:12], null, v6, s11, 0
	s_ashr_i32 s1, s11, 31
	v_mad_u64_u32 v[19:20], null, v6, s12, 0
	s_delay_alu instid0(VALU_DEP_2) | instskip(SKIP_1) | instid1(VALU_DEP_1)
	v_mov_b32_e32 v1, v12
	s_waitcnt vmcnt(0)
	v_mad_u64_u32 v[12:13], null, v6, s1, v[1:2]
	s_ashr_i32 s1, s12, 31
	s_delay_alu instid0(VALU_DEP_1) | instskip(NEXT) | instid1(VALU_DEP_1)
	v_lshlrev_b64 v[11:12], 4, v[11:12]
	v_add_co_u32 v1, vcc_lo, s3, v11
	s_delay_alu instid0(VALU_DEP_2) | instskip(NEXT) | instid1(VALU_DEP_2)
	v_add_co_ci_u32_e32 v12, vcc_lo, s4, v12, vcc_lo
	v_add_co_u32 v11, vcc_lo, v1, v9
	s_delay_alu instid0(VALU_DEP_2)
	v_add_co_ci_u32_e32 v12, vcc_lo, v12, v10, vcc_lo
	v_mov_b32_e32 v1, v20
	global_load_b128 v[11:14], v[11:12], off
	s_waitcnt vmcnt(0)
	v_mul_f64 v[15:16], v[2:3], v[11:12]
	v_mul_f64 v[17:18], v[2:3], v[13:14]
	s_delay_alu instid0(VALU_DEP_2) | instskip(NEXT) | instid1(VALU_DEP_2)
	v_fma_f64 v[13:14], v[4:5], v[13:14], -v[15:16]
	v_fma_f64 v[15:16], v[11:12], -v[4:5], -v[17:18]
	v_mad_u64_u32 v[11:12], null, v6, s1, v[1:2]
	s_mov_b32 s1, 0
	s_delay_alu instid0(VALU_DEP_1) | instskip(NEXT) | instid1(VALU_DEP_1)
	v_mov_b32_e32 v20, v11
	v_lshlrev_b64 v[11:12], 4, v[19:20]
	s_delay_alu instid0(VALU_DEP_1) | instskip(NEXT) | instid1(VALU_DEP_2)
	v_add_co_u32 v1, vcc_lo, s6, v11
	v_add_co_ci_u32_e32 v12, vcc_lo, s7, v12, vcc_lo
	s_delay_alu instid0(VALU_DEP_2) | instskip(NEXT) | instid1(VALU_DEP_2)
	v_add_co_u32 v11, vcc_lo, v1, v9
	v_add_co_ci_u32_e32 v12, vcc_lo, v12, v10, vcc_lo
	global_store_b128 v[11:12], v[13:16], off
.LBB70_25:
	s_and_not1_b32 vcc_lo, exec_lo, s1
	s_cbranch_vccnz .LBB70_27
; %bb.26:
	v_mad_u64_u32 v[11:12], null, v6, s11, 0
	v_mad_u64_u32 v[13:14], null, v6, s12, 0
	s_ashr_i32 s1, s11, 31
	s_delay_alu instid0(VALU_DEP_1) | instskip(SKIP_1) | instid1(VALU_DEP_1)
	v_dual_mov_b32 v1, v12 :: v_dual_mov_b32 v12, v14
	s_waitcnt vmcnt(0)
	v_mad_u64_u32 v[14:15], null, v6, s1, v[1:2]
	s_ashr_i32 s1, s12, 31
	s_delay_alu instid0(VALU_DEP_2) | instid1(SALU_CYCLE_1)
	v_mad_u64_u32 v[15:16], null, v6, s1, v[12:13]
	s_delay_alu instid0(VALU_DEP_2) | instskip(NEXT) | instid1(VALU_DEP_2)
	v_mov_b32_e32 v12, v14
	v_mov_b32_e32 v14, v15
	s_delay_alu instid0(VALU_DEP_2) | instskip(NEXT) | instid1(VALU_DEP_2)
	v_lshlrev_b64 v[11:12], 4, v[11:12]
	v_lshlrev_b64 v[13:14], 4, v[13:14]
	s_delay_alu instid0(VALU_DEP_2) | instskip(NEXT) | instid1(VALU_DEP_3)
	v_add_co_u32 v1, vcc_lo, s3, v11
	v_add_co_ci_u32_e32 v12, vcc_lo, s4, v12, vcc_lo
	s_delay_alu instid0(VALU_DEP_3) | instskip(NEXT) | instid1(VALU_DEP_4)
	v_add_co_u32 v13, vcc_lo, s6, v13
	v_add_co_ci_u32_e32 v14, vcc_lo, s7, v14, vcc_lo
	s_delay_alu instid0(VALU_DEP_4) | instskip(NEXT) | instid1(VALU_DEP_4)
	v_add_co_u32 v11, vcc_lo, v1, v9
	v_add_co_ci_u32_e32 v12, vcc_lo, v12, v10, vcc_lo
	s_delay_alu instid0(VALU_DEP_4) | instskip(NEXT) | instid1(VALU_DEP_4)
	v_add_co_u32 v17, vcc_lo, v13, v9
	v_add_co_ci_u32_e32 v18, vcc_lo, v14, v10, vcc_lo
	global_load_b128 v[9:12], v[11:12], off
	global_load_b128 v[13:16], v[17:18], off
	s_waitcnt vmcnt(0)
	v_add_f64 v[13:14], v[9:10], v[13:14]
	v_add_f64 v[9:10], v[11:12], v[15:16]
	s_delay_alu instid0(VALU_DEP_2) | instskip(NEXT) | instid1(VALU_DEP_2)
	v_mul_f64 v[11:12], v[2:3], v[13:14]
	v_mul_f64 v[15:16], v[2:3], v[9:10]
	s_delay_alu instid0(VALU_DEP_2) | instskip(NEXT) | instid1(VALU_DEP_2)
	v_fma_f64 v[9:10], v[4:5], v[9:10], -v[11:12]
	v_fma_f64 v[11:12], v[13:14], -v[4:5], -v[15:16]
	global_store_b128 v[17:18], v[9:12], off
.LBB70_27:
	s_mov_b32 s1, 0
.LBB70_28:
	s_delay_alu instid0(SALU_CYCLE_1)
	s_and_not1_b32 vcc_lo, exec_lo, s1
	s_cbranch_vccnz .LBB70_33
; %bb.29:
	v_mov_b32_e32 v1, 0
	s_and_not1_b32 vcc_lo, exec_lo, s2
	s_mov_b32 s1, -1
	s_delay_alu instid0(VALU_DEP_1)
	v_lshlrev_b64 v[9:10], 4, v[0:1]
	s_cbranch_vccnz .LBB70_31
; %bb.30:
	v_mad_u64_u32 v[11:12], null, v0, s11, 0
	s_ashr_i32 s1, s11, 31
	v_mad_u64_u32 v[19:20], null, v6, s12, 0
	s_delay_alu instid0(VALU_DEP_2) | instskip(SKIP_1) | instid1(VALU_DEP_1)
	v_mov_b32_e32 v1, v12
	s_waitcnt vmcnt(0)
	v_mad_u64_u32 v[12:13], null, v0, s1, v[1:2]
	s_ashr_i32 s1, s12, 31
	s_delay_alu instid0(VALU_DEP_1) | instskip(NEXT) | instid1(VALU_DEP_1)
	v_lshlrev_b64 v[11:12], 4, v[11:12]
	v_add_co_u32 v1, vcc_lo, s3, v11
	s_delay_alu instid0(VALU_DEP_2) | instskip(NEXT) | instid1(VALU_DEP_2)
	v_add_co_ci_u32_e32 v12, vcc_lo, s4, v12, vcc_lo
	v_add_co_u32 v11, vcc_lo, v1, v7
	s_delay_alu instid0(VALU_DEP_2)
	v_add_co_ci_u32_e32 v12, vcc_lo, v12, v8, vcc_lo
	v_mov_b32_e32 v1, v20
	global_load_b128 v[11:14], v[11:12], off
	s_waitcnt vmcnt(0)
	v_mul_f64 v[15:16], v[4:5], v[13:14]
	v_mul_f64 v[17:18], v[4:5], v[11:12]
	s_delay_alu instid0(VALU_DEP_2) | instskip(NEXT) | instid1(VALU_DEP_2)
	v_fma_f64 v[11:12], v[11:12], -v[2:3], -v[15:16]
	v_fma_f64 v[13:14], v[2:3], v[13:14], -v[17:18]
	v_mad_u64_u32 v[15:16], null, v6, s1, v[1:2]
	s_mov_b32 s1, 0
	s_delay_alu instid0(VALU_DEP_1) | instskip(NEXT) | instid1(VALU_DEP_1)
	v_mov_b32_e32 v20, v15
	v_lshlrev_b64 v[15:16], 4, v[19:20]
	s_delay_alu instid0(VALU_DEP_1) | instskip(NEXT) | instid1(VALU_DEP_2)
	v_add_co_u32 v1, vcc_lo, s6, v15
	v_add_co_ci_u32_e32 v16, vcc_lo, s7, v16, vcc_lo
	s_delay_alu instid0(VALU_DEP_2) | instskip(NEXT) | instid1(VALU_DEP_2)
	v_add_co_u32 v15, vcc_lo, v1, v9
	v_add_co_ci_u32_e32 v16, vcc_lo, v16, v10, vcc_lo
	global_store_b128 v[15:16], v[11:14], off
.LBB70_31:
	s_and_not1_b32 vcc_lo, exec_lo, s1
	s_cbranch_vccnz .LBB70_33
; %bb.32:
	v_mad_u64_u32 v[11:12], null, v0, s11, 0
	v_mad_u64_u32 v[13:14], null, v6, s12, 0
	s_ashr_i32 s1, s11, 31
	s_delay_alu instid0(VALU_DEP_1) | instskip(SKIP_1) | instid1(VALU_DEP_1)
	v_dual_mov_b32 v1, v12 :: v_dual_mov_b32 v12, v14
	s_waitcnt vmcnt(0)
	v_mad_u64_u32 v[14:15], null, v0, s1, v[1:2]
	s_ashr_i32 s1, s12, 31
	s_delay_alu instid0(VALU_DEP_2) | instid1(SALU_CYCLE_1)
	v_mad_u64_u32 v[0:1], null, v6, s1, v[12:13]
	s_delay_alu instid0(VALU_DEP_2) | instskip(NEXT) | instid1(VALU_DEP_2)
	v_mov_b32_e32 v12, v14
	v_mov_b32_e32 v14, v0
	s_delay_alu instid0(VALU_DEP_2) | instskip(NEXT) | instid1(VALU_DEP_2)
	v_lshlrev_b64 v[0:1], 4, v[11:12]
	v_lshlrev_b64 v[11:12], 4, v[13:14]
	s_delay_alu instid0(VALU_DEP_2) | instskip(NEXT) | instid1(VALU_DEP_3)
	v_add_co_u32 v0, vcc_lo, s3, v0
	v_add_co_ci_u32_e32 v1, vcc_lo, s4, v1, vcc_lo
	s_delay_alu instid0(VALU_DEP_3) | instskip(NEXT) | instid1(VALU_DEP_4)
	v_add_co_u32 v6, vcc_lo, s6, v11
	v_add_co_ci_u32_e32 v11, vcc_lo, s7, v12, vcc_lo
	s_delay_alu instid0(VALU_DEP_4) | instskip(NEXT) | instid1(VALU_DEP_4)
	v_add_co_u32 v0, vcc_lo, v0, v7
	v_add_co_ci_u32_e32 v1, vcc_lo, v1, v8, vcc_lo
	s_delay_alu instid0(VALU_DEP_4) | instskip(NEXT) | instid1(VALU_DEP_4)
	v_add_co_u32 v14, vcc_lo, v6, v9
	v_add_co_ci_u32_e32 v15, vcc_lo, v11, v10, vcc_lo
	global_load_b128 v[6:9], v[0:1], off
	global_load_b128 v[10:13], v[14:15], off
	s_waitcnt vmcnt(0)
	v_add_f64 v[6:7], v[6:7], v[10:11]
	v_add_f64 v[0:1], v[12:13], -v[8:9]
	s_delay_alu instid0(VALU_DEP_2) | instskip(NEXT) | instid1(VALU_DEP_2)
	v_mul_f64 v[8:9], v[2:3], v[6:7]
	v_mul_f64 v[2:3], v[2:3], v[0:1]
	s_delay_alu instid0(VALU_DEP_2) | instskip(NEXT) | instid1(VALU_DEP_2)
	v_fma_f64 v[0:1], v[4:5], v[0:1], -v[8:9]
	v_fma_f64 v[2:3], v[6:7], -v[4:5], -v[2:3]
	global_store_b128 v[14:15], v[0:3], off
.LBB70_33:
	s_or_b32 exec_lo, exec_lo, s0
                                        ; implicit-def: $vgpr6_vgpr7
.LBB70_34:
	s_and_not1_saveexec_b32 s0, s18
	s_cbranch_execz .LBB70_36
; %bb.35:
	v_mov_b32_e32 v7, 0
	s_ashr_i32 s0, s12, 31
	s_waitcnt vmcnt(0)
	s_delay_alu instid0(VALU_DEP_1) | instskip(SKIP_1) | instid1(VALU_DEP_2)
	v_lshlrev_b64 v[4:5], 4, v[6:7]
	v_mad_u64_u32 v[7:8], null, v6, s12, 0
	v_add_co_u32 v0, vcc_lo, s13, v4
	s_delay_alu instid0(VALU_DEP_3) | instskip(NEXT) | instid1(VALU_DEP_3)
	v_add_co_ci_u32_e32 v1, vcc_lo, s14, v5, vcc_lo
	v_mad_u64_u32 v[9:10], null, v6, s0, v[8:9]
	global_load_b128 v[0:3], v[0:1], off
	v_mov_b32_e32 v8, v9
	s_delay_alu instid0(VALU_DEP_1) | instskip(NEXT) | instid1(VALU_DEP_1)
	v_lshlrev_b64 v[6:7], 4, v[7:8]
	v_add_co_u32 v6, vcc_lo, s6, v6
	s_delay_alu instid0(VALU_DEP_2) | instskip(NEXT) | instid1(VALU_DEP_2)
	v_add_co_ci_u32_e32 v7, vcc_lo, s7, v7, vcc_lo
	v_add_co_u32 v4, vcc_lo, v6, v4
	s_delay_alu instid0(VALU_DEP_2)
	v_add_co_ci_u32_e32 v5, vcc_lo, v7, v5, vcc_lo
	s_waitcnt vmcnt(0)
	global_store_b128 v[4:5], v[0:3], off
.LBB70_36:
	s_nop 0
	s_sendmsg sendmsg(MSG_DEALLOC_VGPRS)
	s_endpgm
	.section	.rodata,"a",@progbits
	.p2align	6, 0x0
	.amdhsa_kernel _ZN9rocsolver6v33100L14set_triangularI19rocblas_complex_numIdEPS3_TnNSt9enable_ifIX18rocblas_is_complexIT_EEiE4typeELi0EEEviiT0_iilPS6_lSA_il15rocblas_direct_15rocblas_storev_b
		.amdhsa_group_segment_fixed_size 0
		.amdhsa_private_segment_fixed_size 0
		.amdhsa_kernarg_size 344
		.amdhsa_user_sgpr_count 13
		.amdhsa_user_sgpr_dispatch_ptr 0
		.amdhsa_user_sgpr_queue_ptr 0
		.amdhsa_user_sgpr_kernarg_segment_ptr 1
		.amdhsa_user_sgpr_dispatch_id 0
		.amdhsa_user_sgpr_private_segment_size 0
		.amdhsa_wavefront_size32 1
		.amdhsa_uses_dynamic_stack 0
		.amdhsa_enable_private_segment 0
		.amdhsa_system_sgpr_workgroup_id_x 1
		.amdhsa_system_sgpr_workgroup_id_y 1
		.amdhsa_system_sgpr_workgroup_id_z 1
		.amdhsa_system_sgpr_workgroup_info 0
		.amdhsa_system_vgpr_workitem_id 1
		.amdhsa_next_free_vgpr 21
		.amdhsa_next_free_sgpr 22
		.amdhsa_reserve_vcc 1
		.amdhsa_float_round_mode_32 0
		.amdhsa_float_round_mode_16_64 0
		.amdhsa_float_denorm_mode_32 3
		.amdhsa_float_denorm_mode_16_64 3
		.amdhsa_dx10_clamp 1
		.amdhsa_ieee_mode 1
		.amdhsa_fp16_overflow 0
		.amdhsa_workgroup_processor_mode 1
		.amdhsa_memory_ordered 1
		.amdhsa_forward_progress 0
		.amdhsa_shared_vgpr_count 0
		.amdhsa_exception_fp_ieee_invalid_op 0
		.amdhsa_exception_fp_denorm_src 0
		.amdhsa_exception_fp_ieee_div_zero 0
		.amdhsa_exception_fp_ieee_overflow 0
		.amdhsa_exception_fp_ieee_underflow 0
		.amdhsa_exception_fp_ieee_inexact 0
		.amdhsa_exception_int_div_zero 0
	.end_amdhsa_kernel
	.section	.text._ZN9rocsolver6v33100L14set_triangularI19rocblas_complex_numIdEPS3_TnNSt9enable_ifIX18rocblas_is_complexIT_EEiE4typeELi0EEEviiT0_iilPS6_lSA_il15rocblas_direct_15rocblas_storev_b,"axG",@progbits,_ZN9rocsolver6v33100L14set_triangularI19rocblas_complex_numIdEPS3_TnNSt9enable_ifIX18rocblas_is_complexIT_EEiE4typeELi0EEEviiT0_iilPS6_lSA_il15rocblas_direct_15rocblas_storev_b,comdat
.Lfunc_end70:
	.size	_ZN9rocsolver6v33100L14set_triangularI19rocblas_complex_numIdEPS3_TnNSt9enable_ifIX18rocblas_is_complexIT_EEiE4typeELi0EEEviiT0_iilPS6_lSA_il15rocblas_direct_15rocblas_storev_b, .Lfunc_end70-_ZN9rocsolver6v33100L14set_triangularI19rocblas_complex_numIdEPS3_TnNSt9enable_ifIX18rocblas_is_complexIT_EEiE4typeELi0EEEviiT0_iilPS6_lSA_il15rocblas_direct_15rocblas_storev_b
                                        ; -- End function
	.section	.AMDGPU.csdata,"",@progbits
; Kernel info:
; codeLenInByte = 2900
; NumSgprs: 24
; NumVgprs: 21
; ScratchSize: 0
; MemoryBound: 1
; FloatMode: 240
; IeeeMode: 1
; LDSByteSize: 0 bytes/workgroup (compile time only)
; SGPRBlocks: 2
; VGPRBlocks: 2
; NumSGPRsForWavesPerEU: 24
; NumVGPRsForWavesPerEU: 21
; Occupancy: 16
; WaveLimiterHint : 0
; COMPUTE_PGM_RSRC2:SCRATCH_EN: 0
; COMPUTE_PGM_RSRC2:USER_SGPR: 13
; COMPUTE_PGM_RSRC2:TRAP_HANDLER: 0
; COMPUTE_PGM_RSRC2:TGID_X_EN: 1
; COMPUTE_PGM_RSRC2:TGID_Y_EN: 1
; COMPUTE_PGM_RSRC2:TGID_Z_EN: 1
; COMPUTE_PGM_RSRC2:TIDIG_COMP_CNT: 1
	.section	.text._ZN9rocsolver6v33100L7set_tauI19rocblas_complex_numIdEEEviPT_l,"axG",@progbits,_ZN9rocsolver6v33100L7set_tauI19rocblas_complex_numIdEEEviPT_l,comdat
	.globl	_ZN9rocsolver6v33100L7set_tauI19rocblas_complex_numIdEEEviPT_l ; -- Begin function _ZN9rocsolver6v33100L7set_tauI19rocblas_complex_numIdEEEviPT_l
	.p2align	8
	.type	_ZN9rocsolver6v33100L7set_tauI19rocblas_complex_numIdEEEviPT_l,@function
_ZN9rocsolver6v33100L7set_tauI19rocblas_complex_numIdEEEviPT_l: ; @_ZN9rocsolver6v33100L7set_tauI19rocblas_complex_numIdEEEviPT_l
; %bb.0:
	s_clause 0x1
	s_load_b32 s2, s[0:1], 0x24
	s_load_b32 s3, s[0:1], 0x0
	s_waitcnt lgkmcnt(0)
	s_and_b32 s2, s2, 0xffff
	s_delay_alu instid0(SALU_CYCLE_1) | instskip(SKIP_1) | instid1(VALU_DEP_1)
	v_mad_u64_u32 v[1:2], null, s14, s2, v[0:1]
	s_mov_b32 s2, exec_lo
	v_cmpx_gt_u32_e64 s3, v1
	s_cbranch_execz .LBB71_2
; %bb.1:
	s_load_b128 s[0:3], s[0:1], 0x8
	v_mov_b32_e32 v2, 0
	s_delay_alu instid0(VALU_DEP_1)
	v_lshlrev_b64 v[0:1], 4, v[1:2]
	s_waitcnt lgkmcnt(0)
	s_mul_i32 s3, s15, s3
	s_mul_hi_u32 s4, s15, s2
	s_mul_i32 s2, s15, s2
	s_add_i32 s3, s4, s3
	s_delay_alu instid0(SALU_CYCLE_1) | instskip(NEXT) | instid1(SALU_CYCLE_1)
	s_lshl_b64 s[2:3], s[2:3], 4
	s_add_u32 s0, s0, s2
	s_addc_u32 s1, s1, s3
	v_add_co_u32 v4, vcc_lo, s0, v0
	v_add_co_ci_u32_e32 v5, vcc_lo, s1, v1, vcc_lo
	global_load_b128 v[0:3], v[4:5], off
	s_waitcnt vmcnt(0)
	v_xor_b32_e32 v1, 0x80000000, v1
	v_xor_b32_e32 v3, 0x80000000, v3
	global_store_b128 v[4:5], v[0:3], off
.LBB71_2:
	s_nop 0
	s_sendmsg sendmsg(MSG_DEALLOC_VGPRS)
	s_endpgm
	.section	.rodata,"a",@progbits
	.p2align	6, 0x0
	.amdhsa_kernel _ZN9rocsolver6v33100L7set_tauI19rocblas_complex_numIdEEEviPT_l
		.amdhsa_group_segment_fixed_size 0
		.amdhsa_private_segment_fixed_size 0
		.amdhsa_kernarg_size 280
		.amdhsa_user_sgpr_count 14
		.amdhsa_user_sgpr_dispatch_ptr 0
		.amdhsa_user_sgpr_queue_ptr 0
		.amdhsa_user_sgpr_kernarg_segment_ptr 1
		.amdhsa_user_sgpr_dispatch_id 0
		.amdhsa_user_sgpr_private_segment_size 0
		.amdhsa_wavefront_size32 1
		.amdhsa_uses_dynamic_stack 0
		.amdhsa_enable_private_segment 0
		.amdhsa_system_sgpr_workgroup_id_x 1
		.amdhsa_system_sgpr_workgroup_id_y 1
		.amdhsa_system_sgpr_workgroup_id_z 0
		.amdhsa_system_sgpr_workgroup_info 0
		.amdhsa_system_vgpr_workitem_id 0
		.amdhsa_next_free_vgpr 6
		.amdhsa_next_free_sgpr 16
		.amdhsa_reserve_vcc 1
		.amdhsa_float_round_mode_32 0
		.amdhsa_float_round_mode_16_64 0
		.amdhsa_float_denorm_mode_32 3
		.amdhsa_float_denorm_mode_16_64 3
		.amdhsa_dx10_clamp 1
		.amdhsa_ieee_mode 1
		.amdhsa_fp16_overflow 0
		.amdhsa_workgroup_processor_mode 1
		.amdhsa_memory_ordered 1
		.amdhsa_forward_progress 0
		.amdhsa_shared_vgpr_count 0
		.amdhsa_exception_fp_ieee_invalid_op 0
		.amdhsa_exception_fp_denorm_src 0
		.amdhsa_exception_fp_ieee_div_zero 0
		.amdhsa_exception_fp_ieee_overflow 0
		.amdhsa_exception_fp_ieee_underflow 0
		.amdhsa_exception_fp_ieee_inexact 0
		.amdhsa_exception_int_div_zero 0
	.end_amdhsa_kernel
	.section	.text._ZN9rocsolver6v33100L7set_tauI19rocblas_complex_numIdEEEviPT_l,"axG",@progbits,_ZN9rocsolver6v33100L7set_tauI19rocblas_complex_numIdEEEviPT_l,comdat
.Lfunc_end71:
	.size	_ZN9rocsolver6v33100L7set_tauI19rocblas_complex_numIdEEEviPT_l, .Lfunc_end71-_ZN9rocsolver6v33100L7set_tauI19rocblas_complex_numIdEEEviPT_l
                                        ; -- End function
	.section	.AMDGPU.csdata,"",@progbits
; Kernel info:
; codeLenInByte = 180
; NumSgprs: 18
; NumVgprs: 6
; ScratchSize: 0
; MemoryBound: 0
; FloatMode: 240
; IeeeMode: 1
; LDSByteSize: 0 bytes/workgroup (compile time only)
; SGPRBlocks: 2
; VGPRBlocks: 0
; NumSGPRsForWavesPerEU: 18
; NumVGPRsForWavesPerEU: 6
; Occupancy: 16
; WaveLimiterHint : 0
; COMPUTE_PGM_RSRC2:SCRATCH_EN: 0
; COMPUTE_PGM_RSRC2:USER_SGPR: 14
; COMPUTE_PGM_RSRC2:TRAP_HANDLER: 0
; COMPUTE_PGM_RSRC2:TGID_X_EN: 1
; COMPUTE_PGM_RSRC2:TGID_Y_EN: 1
; COMPUTE_PGM_RSRC2:TGID_Z_EN: 0
; COMPUTE_PGM_RSRC2:TIDIG_COMP_CNT: 0
	.section	.text._ZN9rocsolver6v33100L20larft_kernel_forwardI19rocblas_complex_numIdEPS3_EEv15rocblas_storev_iiT0_iilPT_lS8_il,"axG",@progbits,_ZN9rocsolver6v33100L20larft_kernel_forwardI19rocblas_complex_numIdEPS3_EEv15rocblas_storev_iiT0_iilPT_lS8_il,comdat
	.globl	_ZN9rocsolver6v33100L20larft_kernel_forwardI19rocblas_complex_numIdEPS3_EEv15rocblas_storev_iiT0_iilPT_lS8_il ; -- Begin function _ZN9rocsolver6v33100L20larft_kernel_forwardI19rocblas_complex_numIdEPS3_EEv15rocblas_storev_iiT0_iilPT_lS8_il
	.p2align	8
	.type	_ZN9rocsolver6v33100L20larft_kernel_forwardI19rocblas_complex_numIdEPS3_EEv15rocblas_storev_iiT0_iilPT_lS8_il,@function
_ZN9rocsolver6v33100L20larft_kernel_forwardI19rocblas_complex_numIdEPS3_EEv15rocblas_storev_iiT0_iilPT_lS8_il: ; @_ZN9rocsolver6v33100L20larft_kernel_forwardI19rocblas_complex_numIdEPS3_EEv15rocblas_storev_iiT0_iilPT_lS8_il
; %bb.0:
	s_clause 0x4
	s_load_b64 s[20:21], s[0:1], 0x48
	s_load_b128 s[16:19], s[0:1], 0x0
	s_load_b32 s13, s[0:1], 0x5c
	s_load_b256 s[4:11], s[0:1], 0x20
	s_load_b32 s3, s[0:1], 0x40
	s_ashr_i32 s12, s15, 31
	v_lshlrev_b32_e32 v11, 4, v0
	s_waitcnt lgkmcnt(0)
	s_mul_i32 s2, s15, s21
	s_mul_hi_u32 s14, s15, s20
	s_mul_i32 s19, s12, s20
	s_add_i32 s2, s14, s2
	s_mul_i32 s20, s15, s20
	s_add_i32 s21, s2, s19
	v_cmp_gt_i32_e64 s2, s18, v0
	s_lshl_b64 s[20:21], s[20:21], 4
	s_and_b32 s19, s13, 0xffff
	s_add_u32 s28, s10, s20
	s_addc_u32 s29, s11, s21
	s_and_saveexec_b32 s10, s2
	s_cbranch_execz .LBB72_5
; %bb.1:
	v_add_nc_u32_e32 v1, 16, v11
	s_lshl_b32 s13, s18, 4
	v_mov_b32_e32 v5, v0
	s_add_i32 s14, s13, 16
	s_add_i32 s20, s3, 1
	v_mul_lo_u32 v3, s18, v1
	v_mad_u64_u32 v[1:2], null, v0, s3, v[0:1]
	s_mov_b32 s11, 0
	s_mul_i32 s14, s14, s19
	s_mul_i32 s20, s20, s19
	s_delay_alu instid0(VALU_DEP_2)
	v_add3_u32 v4, v3, v11, 0
	.p2align	6
.LBB72_2:                               ; =>This Loop Header: Depth=1
                                        ;     Child Loop BB72_3 Depth 2
	s_delay_alu instid0(VALU_DEP_2) | instskip(NEXT) | instid1(VALU_DEP_2)
	v_mov_b32_e32 v2, v1
	v_dual_mov_b32 v6, v4 :: v_dual_mov_b32 v7, v5
	s_mov_b32 s21, 0
	.p2align	6
.LBB72_3:                               ;   Parent Loop BB72_2 Depth=1
                                        ; =>  This Inner Loop Header: Depth=2
	s_delay_alu instid0(VALU_DEP_2) | instskip(NEXT) | instid1(VALU_DEP_2)
	v_ashrrev_i32_e32 v3, 31, v2
	v_add_nc_u32_e32 v7, 1, v7
	s_delay_alu instid0(VALU_DEP_2) | instskip(SKIP_1) | instid1(VALU_DEP_2)
	v_lshlrev_b64 v[8:9], 4, v[2:3]
	v_add_nc_u32_e32 v2, s3, v2
	v_add_co_u32 v8, vcc_lo, s28, v8
	s_delay_alu instid0(VALU_DEP_3)
	v_add_co_ci_u32_e32 v9, vcc_lo, s29, v9, vcc_lo
	v_cmp_le_i32_e32 vcc_lo, s18, v7
	global_load_b128 v[12:15], v[8:9], off
	s_or_b32 s21, vcc_lo, s21
	s_waitcnt vmcnt(0)
	ds_store_2addr_b64 v6, v[12:13], v[14:15] offset1:1
	v_add_nc_u32_e32 v6, s13, v6
	s_and_not1_b32 exec_lo, exec_lo, s21
	s_cbranch_execnz .LBB72_3
; %bb.4:                                ;   in Loop: Header=BB72_2 Depth=1
	s_or_b32 exec_lo, exec_lo, s21
	v_add_nc_u32_e32 v5, s19, v5
	v_add_nc_u32_e32 v4, s14, v4
	;; [unrolled: 1-line block ×3, first 2 shown]
	s_delay_alu instid0(VALU_DEP_3) | instskip(SKIP_1) | instid1(SALU_CYCLE_1)
	v_cmp_le_i32_e32 vcc_lo, s18, v5
	s_or_b32 s11, vcc_lo, s11
	s_and_not1_b32 exec_lo, exec_lo, s11
	s_cbranch_execnz .LBB72_2
.LBB72_5:
	s_or_b32 exec_lo, exec_lo, s10
	s_cmp_lt_i32 s18, 2
	s_waitcnt lgkmcnt(0)
	s_barrier
	buffer_gl0_inv
	s_cbranch_scc1 .LBB72_29
; %bb.6:
	s_load_b128 s[20:23], s[0:1], 0x10
	s_mul_i32 s1, s15, s9
	s_mul_hi_u32 s10, s15, s8
	s_mul_i32 s11, s12, s8
	s_add_i32 s1, s10, s1
	s_mul_i32 s0, s15, s8
	s_add_i32 s1, s1, s11
	s_mul_i32 s12, s4, s12
	s_lshl_b64 s[0:1], s[0:1], 4
	s_mul_hi_u32 s13, s4, s15
	v_dual_mov_b32 v2, 0 :: v_dual_add_nc_u32 v3, 16, v11
	s_mul_i32 s5, s5, s15
	s_mul_i32 s4, s4, s15
	v_or_b32_e32 v1, 8, v11
	s_delay_alu instid0(VALU_DEP_2)
	v_mul_lo_u32 v3, s18, v3
	v_add_nc_u32_e32 v14, 0, v11
	s_mov_b32 s9, 0
	s_mov_b32 s8, 1
	s_waitcnt lgkmcnt(0)
	s_ashr_i32 s11, s22, 31
	s_add_u32 s30, s6, s0
	s_addc_u32 s31, s7, s1
	s_lshl_b32 s33, s18, 4
	s_mov_b32 s10, s22
	s_add_i32 s34, s33, 0
	s_cmpk_lg_i32 s16, 0xb5
	s_mov_b32 s6, s23
	s_cselect_b32 s16, -1, 0
	s_add_i32 s0, s13, s12
	v_mul_lo_u32 v12, v0, s23
	s_add_i32 s5, s0, s5
	s_lshl_b64 s[0:1], s[10:11], 4
	s_lshl_b64 s[4:5], s[4:5], 4
	v_add3_u32 v13, v3, v11, 0
	s_add_u32 s0, s4, s0
	s_addc_u32 s1, s5, s1
	s_add_u32 s22, s20, s0
	s_addc_u32 s35, s21, s1
	s_ashr_i32 s7, s23, 31
	s_lshl_b32 s10, s23, 1
	s_lshl_b32 s36, s19, 4
	s_lshl_b64 s[12:13], s[6:7], 4
	s_add_u32 s14, s22, 32
	s_addc_u32 s15, s35, 0
	s_add_i32 s38, s33, 16
	s_mul_i32 s37, s23, s19
	s_mul_i32 s38, s38, s19
	s_mov_b64 s[20:21], 0
	s_mov_b32 s24, s23
	s_branch .LBB72_8
.LBB72_7:                               ;   in Loop: Header=BB72_8 Depth=1
	s_set_inst_prefetch_distance 0x2
	s_or_b32 exec_lo, exec_lo, s0
	s_add_i32 s8, s8, 1
	s_add_u32 s20, s20, 16
	s_addc_u32 s21, s21, 0
	s_add_i32 s10, s10, s23
	s_add_u32 s14, s14, 16
	s_addc_u32 s15, s15, 0
	s_add_i32 s24, s24, s23
	s_cmp_eq_u32 s8, s18
	s_waitcnt lgkmcnt(0)
	s_barrier
	buffer_gl0_inv
	s_cbranch_scc1 .LBB72_29
.LBB72_8:                               ; =>This Loop Header: Depth=1
                                        ;     Child Loop BB72_12 Depth 2
                                        ;       Child Loop BB72_14 Depth 3
                                        ;     Child Loop BB72_20 Depth 2
                                        ;       Child Loop BB72_22 Depth 3
	;; [unrolled: 2-line block ×3, first 2 shown]
	s_mul_i32 s0, s8, s18
	s_not_b32 s40, s8
	s_lshl_b32 s0, s0, 4
	s_add_i32 s40, s40, s17
	s_add_i32 s39, s34, s0
	v_cmp_gt_u32_e64 s0, s8, v0
	s_and_b32 vcc_lo, exec_lo, s16
	s_mov_b32 s1, -1
	s_cbranch_vccz .LBB72_16
; %bb.9:                                ;   in Loop: Header=BB72_8 Depth=1
	s_delay_alu instid0(VALU_DEP_1)
	s_and_saveexec_b32 s25, s0
	s_cbranch_execz .LBB72_15
; %bb.10:                               ;   in Loop: Header=BB72_8 Depth=1
	s_ashr_i32 s11, s10, 31
	v_dual_mov_b32 v4, v2 :: v_dual_mov_b32 v3, v1
	s_lshl_b64 s[0:1], s[10:11], 4
	v_mov_b32_e32 v9, v0
	s_add_u32 s26, s22, s0
	s_addc_u32 s27, s35, s1
	s_cmp_gt_i32 s40, 0
	s_mov_b32 s41, 0
	s_cselect_b32 s11, -1, 0
	s_lshl_b64 s[0:1], s[8:9], 4
	s_delay_alu instid0(SALU_CYCLE_1)
	s_add_u32 s0, s30, s0
	s_addc_u32 s1, s31, s1
	s_load_b128 s[4:7], s[0:1], 0x0
	s_branch .LBB72_12
.LBB72_11:                              ;   in Loop: Header=BB72_12 Depth=2
	s_waitcnt lgkmcnt(0)
	s_delay_alu instid0(VALU_DEP_1) | instskip(NEXT) | instid1(VALU_DEP_2)
	v_mul_f64 v[15:16], v[5:6], s[6:7]
	v_mul_f64 v[17:18], v[7:8], s[6:7]
	v_lshlrev_b32_e32 v10, 4, v9
	v_add_nc_u32_e32 v9, s19, v9
	v_add_co_u32 v3, s0, v3, s36
	s_delay_alu instid0(VALU_DEP_1) | instskip(NEXT) | instid1(VALU_DEP_3)
	v_add_co_ci_u32_e64 v4, s0, 0, v4, s0
	v_cmp_le_u32_e32 vcc_lo, s8, v9
	s_or_b32 s41, vcc_lo, s41
	v_fma_f64 v[15:16], v[7:8], s[4:5], -v[15:16]
	v_fma_f64 v[17:18], v[5:6], s[4:5], v[17:18]
	v_add_nc_u32_e32 v5, s39, v10
	v_add_nc_u32_e32 v10, 0, v10
	ds_load_2addr_b64 v[5:8], v5 offset1:1
	s_waitcnt lgkmcnt(0)
	v_add_f64 v[5:6], v[5:6], v[15:16]
	v_add_f64 v[7:8], v[17:18], v[7:8]
	ds_store_2addr_b64 v10, v[5:6], v[7:8] offset1:1
	s_and_not1_b32 exec_lo, exec_lo, s41
	s_cbranch_execz .LBB72_15
.LBB72_12:                              ;   Parent Loop BB72_8 Depth=1
                                        ; =>  This Loop Header: Depth=2
                                        ;       Child Loop BB72_14 Depth 3
	v_mov_b32_e32 v5, 0
	v_mov_b32_e32 v6, 0
	s_and_not1_b32 vcc_lo, exec_lo, s11
	s_delay_alu instid0(VALU_DEP_1)
	v_dual_mov_b32 v8, v6 :: v_dual_mov_b32 v7, v5
	s_cbranch_vccnz .LBB72_11
; %bb.13:                               ;   in Loop: Header=BB72_12 Depth=2
	v_mov_b32_e32 v5, 0
	v_mov_b32_e32 v6, 0
	s_mov_b32 s42, 0
	s_mov_b64 s[0:1], s[26:27]
	s_delay_alu instid0(VALU_DEP_1)
	v_dual_mov_b32 v8, v6 :: v_dual_mov_b32 v7, v5
	.p2align	6
.LBB72_14:                              ;   Parent Loop BB72_8 Depth=1
                                        ;     Parent Loop BB72_12 Depth=2
                                        ; =>    This Inner Loop Header: Depth=3
	v_add_co_u32 v15, vcc_lo, s0, v3
	v_add_co_ci_u32_e32 v16, vcc_lo, s1, v4, vcc_lo
	s_add_u32 s44, s0, s20
	s_addc_u32 s45, s1, s21
	s_add_i32 s42, s42, 1
	s_load_b128 s[44:47], s[44:45], 0x10
	global_load_b128 v[15:18], v[15:16], off offset:-8
	s_add_u32 s0, s0, s12
	s_addc_u32 s1, s1, s13
	s_cmp_ge_i32 s42, s40
	s_waitcnt vmcnt(0) lgkmcnt(0)
	v_mul_f64 v[19:20], s[46:47], v[17:18]
	v_mul_f64 v[21:22], s[46:47], v[15:16]
	s_delay_alu instid0(VALU_DEP_2) | instskip(NEXT) | instid1(VALU_DEP_2)
	v_fma_f64 v[15:16], s[44:45], v[15:16], v[19:20]
	v_fma_f64 v[17:18], s[44:45], v[17:18], -v[21:22]
	s_delay_alu instid0(VALU_DEP_2) | instskip(NEXT) | instid1(VALU_DEP_2)
	v_add_f64 v[7:8], v[7:8], v[15:16]
	v_add_f64 v[5:6], v[5:6], v[17:18]
	s_cbranch_scc0 .LBB72_14
	s_branch .LBB72_11
.LBB72_15:                              ;   in Loop: Header=BB72_8 Depth=1
	s_or_b32 exec_lo, exec_lo, s25
	s_mov_b32 s1, 0
.LBB72_16:                              ;   in Loop: Header=BB72_8 Depth=1
	s_delay_alu instid0(SALU_CYCLE_1)
	s_and_not1_b32 vcc_lo, exec_lo, s1
	s_cbranch_vccnz .LBB72_24
; %bb.17:                               ;   in Loop: Header=BB72_8 Depth=1
	s_mov_b32 s11, exec_lo
	v_cmpx_gt_u32_e64 s8, v0
	s_cbranch_execz .LBB72_23
; %bb.18:                               ;   in Loop: Header=BB72_8 Depth=1
	s_ashr_i32 s25, s24, 31
	v_mov_b32_e32 v3, v12
	s_lshl_b64 s[0:1], s[24:25], 4
	s_cmp_gt_i32 s40, 0
	v_mov_b32_e32 v15, v0
	s_cselect_b32 s25, -1, 0
	s_lshl_b64 s[4:5], s[8:9], 4
	s_mov_b32 s41, 0
	s_add_u32 s4, s30, s4
	s_addc_u32 s5, s31, s5
	s_load_b128 s[4:7], s[4:5], 0x0
	s_branch .LBB72_20
.LBB72_19:                              ;   in Loop: Header=BB72_20 Depth=2
	s_waitcnt lgkmcnt(0)
	s_delay_alu instid0(VALU_DEP_1) | instskip(NEXT) | instid1(VALU_DEP_2)
	v_mul_f64 v[9:10], v[5:6], s[6:7]
	v_mul_f64 v[16:17], v[7:8], s[6:7]
	v_add_nc_u32_e32 v3, s37, v3
	s_delay_alu instid0(VALU_DEP_3) | instskip(NEXT) | instid1(VALU_DEP_3)
	v_fma_f64 v[8:9], v[7:8], s[4:5], -v[9:10]
	v_fma_f64 v[16:17], v[5:6], s[4:5], v[16:17]
	v_lshlrev_b32_e32 v10, 4, v15
	v_add_nc_u32_e32 v15, s19, v15
	s_delay_alu instid0(VALU_DEP_2) | instskip(NEXT) | instid1(VALU_DEP_2)
	v_add_nc_u32_e32 v4, s39, v10
	v_cmp_le_u32_e32 vcc_lo, s8, v15
	ds_load_2addr_b64 v[4:7], v4 offset1:1
	s_or_b32 s41, vcc_lo, s41
	s_waitcnt lgkmcnt(0)
	v_add_f64 v[4:5], v[4:5], v[8:9]
	v_add_f64 v[6:7], v[16:17], v[6:7]
	v_add_nc_u32_e32 v8, 0, v10
	ds_store_2addr_b64 v8, v[4:5], v[6:7] offset1:1
	s_and_not1_b32 exec_lo, exec_lo, s41
	s_cbranch_execz .LBB72_23
.LBB72_20:                              ;   Parent Loop BB72_8 Depth=1
                                        ; =>  This Loop Header: Depth=2
                                        ;       Child Loop BB72_22 Depth 3
	v_mov_b32_e32 v5, 0
	v_mov_b32_e32 v6, 0
	s_and_not1_b32 vcc_lo, exec_lo, s25
	s_delay_alu instid0(VALU_DEP_1)
	v_dual_mov_b32 v8, v6 :: v_dual_mov_b32 v7, v5
	s_cbranch_vccnz .LBB72_19
; %bb.21:                               ;   in Loop: Header=BB72_20 Depth=2
	v_ashrrev_i32_e32 v4, 31, v3
	v_mov_b32_e32 v5, 0
	v_mov_b32_e32 v6, 0
	s_mov_b32 s42, 0
	s_mov_b64 s[26:27], s[14:15]
	v_lshlrev_b64 v[9:10], 4, v[3:4]
	s_delay_alu instid0(VALU_DEP_2)
	v_dual_mov_b32 v8, v6 :: v_dual_mov_b32 v7, v5
	.p2align	6
.LBB72_22:                              ;   Parent Loop BB72_8 Depth=1
                                        ;     Parent Loop BB72_20 Depth=2
                                        ; =>    This Inner Loop Header: Depth=3
	s_delay_alu instid0(VALU_DEP_2) | instskip(NEXT) | instid1(VALU_DEP_3)
	v_add_co_u32 v16, vcc_lo, s26, v9
	v_add_co_ci_u32_e32 v17, vcc_lo, s27, v10, vcc_lo
	s_add_u32 s44, s26, s0
	s_addc_u32 s45, s27, s1
	s_add_i32 s42, s42, 1
	global_load_b128 v[16:19], v[16:17], off
	s_load_b128 s[44:47], s[44:45], 0x0
	s_add_u32 s26, s26, 16
	s_addc_u32 s27, s27, 0
	s_cmp_ge_i32 s42, s40
	s_waitcnt vmcnt(0) lgkmcnt(0)
	v_mul_f64 v[20:21], v[18:19], s[46:47]
	v_mul_f64 v[18:19], v[18:19], s[44:45]
	s_delay_alu instid0(VALU_DEP_2) | instskip(NEXT) | instid1(VALU_DEP_2)
	v_fma_f64 v[20:21], v[16:17], s[44:45], v[20:21]
	v_fma_f64 v[16:17], v[16:17], s[46:47], -v[18:19]
	s_delay_alu instid0(VALU_DEP_2) | instskip(NEXT) | instid1(VALU_DEP_2)
	v_add_f64 v[7:8], v[7:8], v[20:21]
	v_add_f64 v[5:6], v[5:6], v[16:17]
	s_cbranch_scc0 .LBB72_22
	s_branch .LBB72_19
.LBB72_23:                              ;   in Loop: Header=BB72_8 Depth=1
	s_or_b32 exec_lo, exec_lo, s11
.LBB72_24:                              ;   in Loop: Header=BB72_8 Depth=1
	s_delay_alu instid0(SALU_CYCLE_1)
	s_mov_b32 s0, exec_lo
	s_waitcnt lgkmcnt(0)
	s_barrier
	buffer_gl0_inv
	v_cmpx_gt_u32_e64 s8, v0
	s_cbranch_execz .LBB72_7
; %bb.25:                               ;   in Loop: Header=BB72_8 Depth=1
	v_dual_mov_b32 v7, v14 :: v_dual_mov_b32 v8, v13
	v_mov_b32_e32 v9, v0
	s_mov_b32 s1, 0
	s_set_inst_prefetch_distance 0x1
	.p2align	6
.LBB72_26:                              ;   Parent Loop BB72_8 Depth=1
                                        ; =>  This Loop Header: Depth=2
                                        ;       Child Loop BB72_27 Depth 3
	s_delay_alu instid0(VALU_DEP_2) | instskip(SKIP_3) | instid1(VALU_DEP_2)
	v_dual_mov_b32 v3, 0 :: v_dual_mov_b32 v10, v7
	v_dual_mov_b32 v4, 0 :: v_dual_mov_b32 v15, v8
	v_mov_b32_e32 v16, v9
	s_mov_b32 s4, 0
	v_dual_mov_b32 v6, v4 :: v_dual_mov_b32 v5, v3
	.p2align	6
.LBB72_27:                              ;   Parent Loop BB72_8 Depth=1
                                        ;     Parent Loop BB72_26 Depth=2
                                        ; =>    This Inner Loop Header: Depth=3
	ds_load_2addr_b64 v[17:20], v10 offset1:1
	ds_load_2addr_b64 v[21:24], v15 offset1:1
	v_add_nc_u32_e32 v16, 1, v16
	v_add_nc_u32_e32 v15, s33, v15
	;; [unrolled: 1-line block ×3, first 2 shown]
	s_delay_alu instid0(VALU_DEP_3) | instskip(SKIP_4) | instid1(VALU_DEP_2)
	v_cmp_le_u32_e32 vcc_lo, s8, v16
	s_or_b32 s4, vcc_lo, s4
	s_waitcnt lgkmcnt(0)
	v_mul_f64 v[25:26], v[19:20], v[23:24]
	v_mul_f64 v[23:24], v[17:18], v[23:24]
	v_fma_f64 v[17:18], v[17:18], v[21:22], -v[25:26]
	s_delay_alu instid0(VALU_DEP_2) | instskip(NEXT) | instid1(VALU_DEP_2)
	v_fma_f64 v[19:20], v[19:20], v[21:22], v[23:24]
	v_add_f64 v[3:4], v[3:4], v[17:18]
	s_delay_alu instid0(VALU_DEP_2)
	v_add_f64 v[5:6], v[5:6], v[19:20]
	s_and_not1_b32 exec_lo, exec_lo, s4
	s_cbranch_execnz .LBB72_27
; %bb.28:                               ;   in Loop: Header=BB72_26 Depth=2
	s_or_b32 exec_lo, exec_lo, s4
	v_lshl_add_u32 v10, v9, 4, s39
	v_add_nc_u32_e32 v9, s19, v9
	v_add_nc_u32_e32 v8, s38, v8
	;; [unrolled: 1-line block ×3, first 2 shown]
	ds_store_2addr_b64 v10, v[3:4], v[5:6] offset1:1
	v_cmp_le_u32_e32 vcc_lo, s8, v9
	s_or_b32 s1, vcc_lo, s1
	s_delay_alu instid0(SALU_CYCLE_1)
	s_and_not1_b32 exec_lo, exec_lo, s1
	s_cbranch_execnz .LBB72_26
	s_branch .LBB72_7
.LBB72_29:
	s_and_saveexec_b32 s0, s2
	s_cbranch_execz .LBB72_34
; %bb.30:
	v_add_nc_u32_e32 v1, 16, v11
	s_lshl_b32 s2, s18, 4
	s_add_i32 s1, s3, 1
	s_add_i32 s5, s2, 16
	s_mul_i32 s1, s1, s19
	v_mul_lo_u32 v3, s18, v1
	v_mad_u64_u32 v[1:2], null, v0, s3, v[0:1]
	s_mov_b32 s4, 0
	s_mul_i32 s5, s5, s19
	s_delay_alu instid0(VALU_DEP_2)
	v_add3_u32 v4, v3, v11, 0
	.p2align	6
.LBB72_31:                              ; =>This Loop Header: Depth=1
                                        ;     Child Loop BB72_32 Depth 2
	s_delay_alu instid0(VALU_DEP_1)
	v_dual_mov_b32 v5, v4 :: v_dual_mov_b32 v2, v1
	v_mov_b32_e32 v6, v0
	s_mov_b32 s6, 0
	.p2align	6
.LBB72_32:                              ;   Parent Loop BB72_31 Depth=1
                                        ; =>  This Inner Loop Header: Depth=2
	ds_load_2addr_b64 v[7:10], v5 offset1:1
	v_ashrrev_i32_e32 v3, 31, v2
	v_add_nc_u32_e32 v6, 1, v6
	v_add_nc_u32_e32 v5, s2, v5
	s_delay_alu instid0(VALU_DEP_3) | instskip(NEXT) | instid1(VALU_DEP_3)
	v_lshlrev_b64 v[11:12], 4, v[2:3]
	v_cmp_le_i32_e32 vcc_lo, s18, v6
	v_add_nc_u32_e32 v2, s3, v2
	s_or_b32 s6, vcc_lo, s6
	s_delay_alu instid0(VALU_DEP_3) | instskip(NEXT) | instid1(VALU_DEP_1)
	v_add_co_u32 v11, s0, s28, v11
	v_add_co_ci_u32_e64 v12, s0, s29, v12, s0
	s_waitcnt lgkmcnt(0)
	global_store_b128 v[11:12], v[7:10], off
	s_and_not1_b32 exec_lo, exec_lo, s6
	s_cbranch_execnz .LBB72_32
; %bb.33:                               ;   in Loop: Header=BB72_31 Depth=1
	s_or_b32 exec_lo, exec_lo, s6
	v_add_nc_u32_e32 v0, s19, v0
	v_add_nc_u32_e32 v1, s1, v1
	;; [unrolled: 1-line block ×3, first 2 shown]
	s_delay_alu instid0(VALU_DEP_3) | instskip(SKIP_1) | instid1(SALU_CYCLE_1)
	v_cmp_le_i32_e32 vcc_lo, s18, v0
	s_or_b32 s4, vcc_lo, s4
	s_and_not1_b32 exec_lo, exec_lo, s4
	s_cbranch_execnz .LBB72_31
.LBB72_34:
	s_nop 0
	s_sendmsg sendmsg(MSG_DEALLOC_VGPRS)
	s_endpgm
	.section	.rodata,"a",@progbits
	.p2align	6, 0x0
	.amdhsa_kernel _ZN9rocsolver6v33100L20larft_kernel_forwardI19rocblas_complex_numIdEPS3_EEv15rocblas_storev_iiT0_iilPT_lS8_il
		.amdhsa_group_segment_fixed_size 0
		.amdhsa_private_segment_fixed_size 0
		.amdhsa_kernarg_size 336
		.amdhsa_user_sgpr_count 14
		.amdhsa_user_sgpr_dispatch_ptr 0
		.amdhsa_user_sgpr_queue_ptr 0
		.amdhsa_user_sgpr_kernarg_segment_ptr 1
		.amdhsa_user_sgpr_dispatch_id 0
		.amdhsa_user_sgpr_private_segment_size 0
		.amdhsa_wavefront_size32 1
		.amdhsa_uses_dynamic_stack 0
		.amdhsa_enable_private_segment 0
		.amdhsa_system_sgpr_workgroup_id_x 1
		.amdhsa_system_sgpr_workgroup_id_y 1
		.amdhsa_system_sgpr_workgroup_id_z 0
		.amdhsa_system_sgpr_workgroup_info 0
		.amdhsa_system_vgpr_workitem_id 0
		.amdhsa_next_free_vgpr 27
		.amdhsa_next_free_sgpr 48
		.amdhsa_reserve_vcc 1
		.amdhsa_float_round_mode_32 0
		.amdhsa_float_round_mode_16_64 0
		.amdhsa_float_denorm_mode_32 3
		.amdhsa_float_denorm_mode_16_64 3
		.amdhsa_dx10_clamp 1
		.amdhsa_ieee_mode 1
		.amdhsa_fp16_overflow 0
		.amdhsa_workgroup_processor_mode 1
		.amdhsa_memory_ordered 1
		.amdhsa_forward_progress 0
		.amdhsa_shared_vgpr_count 0
		.amdhsa_exception_fp_ieee_invalid_op 0
		.amdhsa_exception_fp_denorm_src 0
		.amdhsa_exception_fp_ieee_div_zero 0
		.amdhsa_exception_fp_ieee_overflow 0
		.amdhsa_exception_fp_ieee_underflow 0
		.amdhsa_exception_fp_ieee_inexact 0
		.amdhsa_exception_int_div_zero 0
	.end_amdhsa_kernel
	.section	.text._ZN9rocsolver6v33100L20larft_kernel_forwardI19rocblas_complex_numIdEPS3_EEv15rocblas_storev_iiT0_iilPT_lS8_il,"axG",@progbits,_ZN9rocsolver6v33100L20larft_kernel_forwardI19rocblas_complex_numIdEPS3_EEv15rocblas_storev_iiT0_iilPT_lS8_il,comdat
.Lfunc_end72:
	.size	_ZN9rocsolver6v33100L20larft_kernel_forwardI19rocblas_complex_numIdEPS3_EEv15rocblas_storev_iiT0_iilPT_lS8_il, .Lfunc_end72-_ZN9rocsolver6v33100L20larft_kernel_forwardI19rocblas_complex_numIdEPS3_EEv15rocblas_storev_iiT0_iilPT_lS8_il
                                        ; -- End function
	.section	.AMDGPU.csdata,"",@progbits
; Kernel info:
; codeLenInByte = 1928
; NumSgprs: 50
; NumVgprs: 27
; ScratchSize: 0
; MemoryBound: 0
; FloatMode: 240
; IeeeMode: 1
; LDSByteSize: 0 bytes/workgroup (compile time only)
; SGPRBlocks: 6
; VGPRBlocks: 3
; NumSGPRsForWavesPerEU: 50
; NumVGPRsForWavesPerEU: 27
; Occupancy: 16
; WaveLimiterHint : 0
; COMPUTE_PGM_RSRC2:SCRATCH_EN: 0
; COMPUTE_PGM_RSRC2:USER_SGPR: 14
; COMPUTE_PGM_RSRC2:TRAP_HANDLER: 0
; COMPUTE_PGM_RSRC2:TGID_X_EN: 1
; COMPUTE_PGM_RSRC2:TGID_Y_EN: 1
; COMPUTE_PGM_RSRC2:TGID_Z_EN: 0
; COMPUTE_PGM_RSRC2:TIDIG_COMP_CNT: 0
	.section	.text._ZN9rocsolver6v33100L21larft_kernel_backwardI19rocblas_complex_numIdEPS3_EEv15rocblas_storev_iiT0_iilPT_lS8_il,"axG",@progbits,_ZN9rocsolver6v33100L21larft_kernel_backwardI19rocblas_complex_numIdEPS3_EEv15rocblas_storev_iiT0_iilPT_lS8_il,comdat
	.globl	_ZN9rocsolver6v33100L21larft_kernel_backwardI19rocblas_complex_numIdEPS3_EEv15rocblas_storev_iiT0_iilPT_lS8_il ; -- Begin function _ZN9rocsolver6v33100L21larft_kernel_backwardI19rocblas_complex_numIdEPS3_EEv15rocblas_storev_iiT0_iilPT_lS8_il
	.p2align	8
	.type	_ZN9rocsolver6v33100L21larft_kernel_backwardI19rocblas_complex_numIdEPS3_EEv15rocblas_storev_iiT0_iilPT_lS8_il,@function
_ZN9rocsolver6v33100L21larft_kernel_backwardI19rocblas_complex_numIdEPS3_EEv15rocblas_storev_iiT0_iilPT_lS8_il: ; @_ZN9rocsolver6v33100L21larft_kernel_backwardI19rocblas_complex_numIdEPS3_EEv15rocblas_storev_iiT0_iilPT_lS8_il
; %bb.0:
	s_clause 0x4
	s_load_b64 s[20:21], s[0:1], 0x48
	s_load_b128 s[16:19], s[0:1], 0x0
	s_load_b32 s13, s[0:1], 0x5c
	s_load_b256 s[4:11], s[0:1], 0x20
	s_load_b32 s3, s[0:1], 0x40
	s_ashr_i32 s12, s15, 31
	v_add_nc_u32_e32 v10, 1, v0
	v_lshlrev_b32_e32 v11, 4, v0
	s_waitcnt lgkmcnt(0)
	s_mul_i32 s2, s15, s21
	s_mul_hi_u32 s14, s15, s20
	s_mul_i32 s19, s12, s20
	s_add_i32 s2, s14, s2
	s_mul_i32 s20, s15, s20
	s_add_i32 s21, s2, s19
	v_cmp_gt_i32_e64 s2, s18, v0
	s_lshl_b64 s[20:21], s[20:21], 4
	s_and_b32 s19, s13, 0xffff
	s_add_u32 s24, s10, s20
	s_addc_u32 s25, s11, s21
	s_and_saveexec_b32 s10, s2
	s_cbranch_execz .LBB73_5
; %bb.1:
	s_lshl_b32 s11, s18, 4
	v_add_nc_u32_e32 v3, 1, v0
	v_add3_u32 v4, 0, s11, v11
	v_mov_b32_e32 v5, v0
	s_mov_b32 s13, 0
	s_lshl_b32 s14, s19, 4
	.p2align	6
.LBB73_2:                               ; =>This Loop Header: Depth=1
                                        ;     Child Loop BB73_3 Depth 2
	s_delay_alu instid0(VALU_DEP_1)
	v_dual_mov_b32 v1, v5 :: v_dual_mov_b32 v6, v4
	s_mov_b32 s20, 0
	s_mov_b32 s21, 0
	.p2align	6
.LBB73_3:                               ;   Parent Loop BB73_2 Depth=1
                                        ; =>  This Inner Loop Header: Depth=2
	s_delay_alu instid0(VALU_DEP_1) | instskip(SKIP_1) | instid1(VALU_DEP_1)
	v_ashrrev_i32_e32 v2, 31, v1
	s_add_i32 s21, s21, 1
	v_lshlrev_b64 v[7:8], 4, v[1:2]
	v_add_nc_u32_e32 v1, s3, v1
	s_delay_alu instid0(VALU_DEP_2) | instskip(NEXT) | instid1(VALU_DEP_3)
	v_add_co_u32 v7, vcc_lo, s24, v7
	v_add_co_ci_u32_e32 v8, vcc_lo, s25, v8, vcc_lo
	v_cmp_eq_u32_e32 vcc_lo, s21, v3
	global_load_b128 v[12:15], v[7:8], off
	s_or_b32 s20, vcc_lo, s20
	s_waitcnt vmcnt(0)
	ds_store_2addr_b64 v6, v[12:13], v[14:15] offset1:1
	v_add_nc_u32_e32 v6, s11, v6
	s_and_not1_b32 exec_lo, exec_lo, s20
	s_cbranch_execnz .LBB73_3
; %bb.4:                                ;   in Loop: Header=BB73_2 Depth=1
	s_or_b32 exec_lo, exec_lo, s20
	v_add_nc_u32_e32 v5, s19, v5
	v_add_nc_u32_e32 v3, s19, v3
	;; [unrolled: 1-line block ×3, first 2 shown]
	s_delay_alu instid0(VALU_DEP_3) | instskip(SKIP_1) | instid1(SALU_CYCLE_1)
	v_cmp_le_i32_e32 vcc_lo, s18, v5
	s_or_b32 s13, vcc_lo, s13
	s_and_not1_b32 exec_lo, exec_lo, s13
	s_cbranch_execnz .LBB73_2
.LBB73_5:
	s_or_b32 exec_lo, exec_lo, s10
	s_cmp_lt_i32 s18, 2
	s_waitcnt lgkmcnt(0)
	s_barrier
	buffer_gl0_inv
	s_cbranch_scc1 .LBB73_29
; %bb.6:
	s_load_b128 s[20:23], s[0:1], 0x10
	s_mul_i32 s1, s15, s9
	s_mul_hi_u32 s9, s15, s8
	s_mul_i32 s10, s12, s8
	s_add_i32 s1, s9, s1
	s_mul_i32 s0, s15, s8
	s_add_i32 s1, s1, s10
	s_mul_i32 s10, s5, s15
	s_lshl_b64 s[0:1], s[0:1], 4
	s_mul_i32 s11, s4, s12
	s_mul_hi_u32 s9, s4, s15
	s_waitcnt lgkmcnt(0)
	s_ashr_i32 s5, s22, 31
	s_add_u32 s26, s6, s0
	s_addc_u32 s27, s7, s1
	s_lshl_b32 s28, s18, 4
	s_add_i32 s8, s18, -2
	s_sub_i32 s29, s17, s18
	s_add_i32 s30, s28, 0
	s_cmpk_lg_i32 s16, 0xb5
	s_mul_i32 s0, s4, s15
	s_cselect_b32 s31, -1, 0
	s_add_i32 s1, s9, s11
	s_mov_b32 s4, s22
	s_add_i32 s1, s1, s10
	s_lshl_b64 s[4:5], s[4:5], 4
	s_lshl_b64 s[0:1], s[0:1], 4
	s_mov_b32 s9, 0
	s_add_u32 s6, s0, s4
	s_addc_u32 s7, s1, s5
	s_lshl_b64 s[0:1], s[8:9], 4
	s_mov_b32 s4, s23
	s_add_u32 s5, s20, s0
	s_addc_u32 s10, s21, s1
	s_add_u32 s11, s5, s6
	s_addc_u32 s10, s10, s7
	s_ashr_i32 s5, s23, 31
	v_add_co_u32 v1, s11, s11, v11
	s_lshl_b32 s22, s19, 4
	v_add_co_ci_u32_e64 v2, null, s10, 0, s11
	s_lshl_b64 s[10:11], s[4:5], 4
	s_add_u32 s4, s6, s20
	s_addc_u32 s5, s7, s21
	s_add_u32 s20, s4, 8
	s_addc_u32 s21, s5, 0
	;; [unrolled: 2-line block ×3, first 2 shown]
	s_add_i32 s0, s28, 16
	v_mul_lo_u32 v12, v0, s23
	s_mul_i32 s0, s18, s0
	v_add_co_u32 v1, vcc_lo, v1, 16
	s_add_i32 s0, s0, 0
	v_add_co_ci_u32_e32 v2, vcc_lo, 0, v2, vcc_lo
	v_add3_u32 v13, s0, v11, -16
	s_add_i32 s1, s18, -1
	s_mul_i32 s12, s23, s8
	s_mul_i32 s14, s23, s1
	;; [unrolled: 1-line block ×3, first 2 shown]
	s_xor_b32 s36, s28, -16
	s_branch .LBB73_8
.LBB73_7:                               ;   in Loop: Header=BB73_8 Depth=1
	s_set_inst_prefetch_distance 0x2
	s_or_b32 exec_lo, exec_lo, s0
	v_add_co_u32 v1, vcc_lo, v1, -16
	s_add_i32 s0, s8, -1
	v_add_co_ci_u32_e32 v2, vcc_lo, -1, v2, vcc_lo
	v_add_nc_u32_e32 v13, s36, v13
	s_add_u32 s33, s33, -16
	s_addc_u32 s34, s34, -1
	s_sub_i32 s12, s12, s23
	s_sub_i32 s14, s14, s23
	s_cmp_lt_i32 s8, 1
	s_mov_b32 s8, s0
	s_waitcnt lgkmcnt(0)
	s_barrier
	buffer_gl0_inv
	s_cbranch_scc1 .LBB73_29
.LBB73_8:                               ; =>This Loop Header: Depth=1
                                        ;     Child Loop BB73_12 Depth 2
                                        ;       Child Loop BB73_14 Depth 3
                                        ;     Child Loop BB73_20 Depth 2
                                        ;       Child Loop BB73_22 Depth 3
	;; [unrolled: 2-line block ×3, first 2 shown]
	s_not_b32 s37, s8
	s_lshl_b32 s0, s8, 4
	s_mul_i32 s1, s8, s18
	s_add_i32 s37, s37, s18
	s_add_i32 s38, s30, s0
	s_lshl_b32 s0, s1, 4
	s_add_i32 s39, s8, s29
	s_add_i32 s38, s38, s0
	v_cmp_gt_i32_e64 s0, s37, v0
	s_and_b32 vcc_lo, exec_lo, s31
	s_mov_b32 s1, -1
	s_cbranch_vccz .LBB73_16
; %bb.9:                                ;   in Loop: Header=BB73_8 Depth=1
	s_delay_alu instid0(VALU_DEP_1)
	s_and_saveexec_b32 s13, s0
	s_cbranch_execz .LBB73_15
; %bb.10:                               ;   in Loop: Header=BB73_8 Depth=1
	s_cmp_gt_i32 s39, 0
	v_dual_mov_b32 v4, v2 :: v_dual_mov_b32 v3, v1
	s_cselect_b32 s15, -1, 0
	s_lshl_b64 s[0:1], s[8:9], 4
	v_mov_b32_e32 v9, v0
	s_add_u32 s0, s26, s0
	s_addc_u32 s1, s27, s1
	s_mov_b32 s16, 0
	s_load_b128 s[4:7], s[0:1], 0x0
	s_add_i32 s17, s38, 16
	s_branch .LBB73_12
.LBB73_11:                              ;   in Loop: Header=BB73_12 Depth=2
	s_waitcnt lgkmcnt(0)
	s_delay_alu instid0(VALU_DEP_1) | instskip(NEXT) | instid1(VALU_DEP_2)
	v_mul_f64 v[14:15], v[5:6], s[6:7]
	v_mul_f64 v[16:17], v[7:8], s[6:7]
	v_lshlrev_b32_e32 v18, 4, v9
	v_add_nc_u32_e32 v9, s19, v9
	v_add_co_u32 v3, s0, v3, s22
	s_delay_alu instid0(VALU_DEP_1) | instskip(NEXT) | instid1(VALU_DEP_3)
	v_add_co_ci_u32_e64 v4, s0, 0, v4, s0
	v_cmp_le_i32_e32 vcc_lo, s37, v9
	s_or_b32 s16, vcc_lo, s16
	v_fma_f64 v[14:15], v[7:8], s[4:5], -v[14:15]
	v_fma_f64 v[16:17], v[5:6], s[4:5], v[16:17]
	v_add_nc_u32_e32 v5, s17, v18
	ds_load_2addr_b64 v[5:8], v5 offset1:1
	s_waitcnt lgkmcnt(0)
	v_add_f64 v[5:6], v[5:6], v[14:15]
	v_add_f64 v[7:8], v[16:17], v[7:8]
	v_add_nc_u32_e32 v14, 0, v18
	ds_store_2addr_b64 v14, v[5:6], v[7:8] offset1:1
	s_and_not1_b32 exec_lo, exec_lo, s16
	s_cbranch_execz .LBB73_15
.LBB73_12:                              ;   Parent Loop BB73_8 Depth=1
                                        ; =>  This Loop Header: Depth=2
                                        ;       Child Loop BB73_14 Depth 3
	v_mov_b32_e32 v5, 0
	v_mov_b32_e32 v6, 0
	s_and_not1_b32 vcc_lo, exec_lo, s15
	s_delay_alu instid0(VALU_DEP_1)
	v_dual_mov_b32 v8, v6 :: v_dual_mov_b32 v7, v5
	s_cbranch_vccnz .LBB73_11
; %bb.13:                               ;   in Loop: Header=BB73_12 Depth=2
	v_mov_b32_e32 v5, 0
	v_mov_b32_e32 v6, 0
	s_mov_b64 s[0:1], 0
	s_mov_b32 s40, 0
	s_delay_alu instid0(VALU_DEP_1)
	v_dual_mov_b32 v8, v6 :: v_dual_mov_b32 v7, v5
	.p2align	6
.LBB73_14:                              ;   Parent Loop BB73_8 Depth=1
                                        ;     Parent Loop BB73_12 Depth=2
                                        ; =>    This Inner Loop Header: Depth=3
	v_add_co_u32 v14, vcc_lo, v3, s0
	v_add_co_ci_u32_e32 v15, vcc_lo, s1, v4, vcc_lo
	s_add_u32 s41, s33, s0
	s_addc_u32 s43, s34, s1
	s_add_u32 s42, s41, -8
	global_load_b128 v[14:17], v[14:15], off
	s_addc_u32 s43, s43, -1
	s_add_i32 s40, s40, 1
	s_load_b128 s[44:47], s[42:43], 0x0
	s_add_u32 s0, s0, s10
	s_addc_u32 s1, s1, s11
	s_cmp_ge_i32 s40, s39
	s_waitcnt vmcnt(0) lgkmcnt(0)
	v_mul_f64 v[18:19], s[46:47], v[16:17]
	v_mul_f64 v[20:21], s[46:47], v[14:15]
	s_delay_alu instid0(VALU_DEP_2) | instskip(NEXT) | instid1(VALU_DEP_2)
	v_fma_f64 v[14:15], s[44:45], v[14:15], v[18:19]
	v_fma_f64 v[16:17], s[44:45], v[16:17], -v[20:21]
	s_delay_alu instid0(VALU_DEP_2) | instskip(NEXT) | instid1(VALU_DEP_2)
	v_add_f64 v[7:8], v[7:8], v[14:15]
	v_add_f64 v[5:6], v[5:6], v[16:17]
	s_cbranch_scc0 .LBB73_14
	s_branch .LBB73_11
.LBB73_15:                              ;   in Loop: Header=BB73_8 Depth=1
	s_or_b32 exec_lo, exec_lo, s13
	s_mov_b32 s1, 0
.LBB73_16:                              ;   in Loop: Header=BB73_8 Depth=1
	s_delay_alu instid0(SALU_CYCLE_1)
	s_and_not1_b32 vcc_lo, exec_lo, s1
	s_cbranch_vccnz .LBB73_24
; %bb.17:                               ;   in Loop: Header=BB73_8 Depth=1
	s_mov_b32 s40, exec_lo
	v_cmpx_gt_i32_e64 s37, v0
	s_cbranch_execz .LBB73_23
; %bb.18:                               ;   in Loop: Header=BB73_8 Depth=1
	s_ashr_i32 s13, s12, 31
	v_mov_b32_e32 v3, v12
	s_lshl_b64 s[0:1], s[12:13], 4
	v_mov_b32_e32 v14, v0
	s_add_u32 s0, s20, s0
	s_addc_u32 s1, s21, s1
	s_ashr_i32 s15, s14, 31
	s_delay_alu instid0(SALU_CYCLE_1) | instskip(SKIP_4) | instid1(SALU_CYCLE_1)
	s_lshl_b64 s[16:17], s[14:15], 4
	s_cmp_gt_i32 s39, 0
	s_mov_b32 s15, 0
	s_cselect_b32 s13, -1, 0
	s_lshl_b64 s[4:5], s[8:9], 4
	s_add_u32 s4, s26, s4
	s_addc_u32 s5, s27, s5
	s_add_i32 s41, s38, 16
	s_load_b128 s[4:7], s[4:5], 0x0
	s_add_u32 s42, s20, s16
	s_addc_u32 s43, s21, s17
	s_branch .LBB73_20
.LBB73_19:                              ;   in Loop: Header=BB73_20 Depth=2
	s_waitcnt lgkmcnt(0)
	s_delay_alu instid0(VALU_DEP_1) | instskip(NEXT) | instid1(VALU_DEP_2)
	v_mul_f64 v[8:9], v[4:5], s[6:7]
	v_mul_f64 v[15:16], v[6:7], s[6:7]
	v_lshlrev_b32_e32 v17, 4, v14
	v_add_nc_u32_e32 v14, s19, v14
	v_add_nc_u32_e32 v3, s35, v3
	s_delay_alu instid0(VALU_DEP_2)
	v_cmp_le_i32_e32 vcc_lo, s37, v14
	s_or_b32 s15, vcc_lo, s15
	v_fma_f64 v[8:9], v[6:7], s[4:5], -v[8:9]
	v_fma_f64 v[15:16], v[4:5], s[4:5], v[15:16]
	v_add_nc_u32_e32 v4, s41, v17
	ds_load_2addr_b64 v[4:7], v4 offset1:1
	s_waitcnt lgkmcnt(0)
	v_add_f64 v[4:5], v[4:5], v[8:9]
	v_add_f64 v[6:7], v[15:16], v[6:7]
	v_add_nc_u32_e32 v8, 0, v17
	ds_store_2addr_b64 v8, v[4:5], v[6:7] offset1:1
	s_and_not1_b32 exec_lo, exec_lo, s15
	s_cbranch_execz .LBB73_23
.LBB73_20:                              ;   Parent Loop BB73_8 Depth=1
                                        ; =>  This Loop Header: Depth=2
                                        ;       Child Loop BB73_22 Depth 3
	v_mov_b32_e32 v4, 0
	v_mov_b32_e32 v5, 0
	s_and_not1_b32 vcc_lo, exec_lo, s13
	s_delay_alu instid0(VALU_DEP_1)
	v_dual_mov_b32 v7, v5 :: v_dual_mov_b32 v6, v4
	s_cbranch_vccnz .LBB73_19
; %bb.21:                               ;   in Loop: Header=BB73_20 Depth=2
	v_ashrrev_i32_e32 v4, 31, v3
	s_mov_b32 s44, 0
	s_mov_b64 s[16:17], s[0:1]
	s_delay_alu instid0(VALU_DEP_1) | instskip(SKIP_2) | instid1(VALU_DEP_3)
	v_lshlrev_b64 v[6:7], 4, v[3:4]
	v_mov_b32_e32 v4, 0
	v_mov_b32_e32 v5, 0
	v_add_co_u32 v8, vcc_lo, s42, v6
	s_delay_alu instid0(VALU_DEP_4) | instskip(NEXT) | instid1(VALU_DEP_3)
	v_add_co_ci_u32_e32 v9, vcc_lo, s43, v7, vcc_lo
	v_dual_mov_b32 v7, v5 :: v_dual_mov_b32 v6, v4
	.p2align	6
.LBB73_22:                              ;   Parent Loop BB73_8 Depth=1
                                        ;     Parent Loop BB73_20 Depth=2
                                        ; =>    This Inner Loop Header: Depth=3
	global_load_b128 v[15:18], v[8:9], off offset:-8
	s_add_u32 s46, s16, -8
	s_addc_u32 s47, s17, -1
	v_add_co_u32 v8, vcc_lo, v8, 16
	s_load_b128 s[48:51], s[46:47], 0x0
	v_add_co_ci_u32_e32 v9, vcc_lo, 0, v9, vcc_lo
	s_add_i32 s44, s44, 1
	s_add_u32 s16, s16, 16
	s_addc_u32 s17, s17, 0
	s_cmp_ge_i32 s44, s39
	s_waitcnt vmcnt(0) lgkmcnt(0)
	v_mul_f64 v[19:20], v[17:18], s[50:51]
	v_mul_f64 v[17:18], v[17:18], s[48:49]
	s_delay_alu instid0(VALU_DEP_2) | instskip(NEXT) | instid1(VALU_DEP_2)
	v_fma_f64 v[19:20], v[15:16], s[48:49], v[19:20]
	v_fma_f64 v[15:16], v[15:16], s[50:51], -v[17:18]
	s_delay_alu instid0(VALU_DEP_2) | instskip(NEXT) | instid1(VALU_DEP_2)
	v_add_f64 v[6:7], v[6:7], v[19:20]
	v_add_f64 v[4:5], v[4:5], v[15:16]
	s_cbranch_scc0 .LBB73_22
	s_branch .LBB73_19
.LBB73_23:                              ;   in Loop: Header=BB73_8 Depth=1
	s_or_b32 exec_lo, exec_lo, s40
.LBB73_24:                              ;   in Loop: Header=BB73_8 Depth=1
	s_delay_alu instid0(SALU_CYCLE_1)
	s_mov_b32 s0, exec_lo
	s_waitcnt lgkmcnt(0)
	s_barrier
	buffer_gl0_inv
	v_cmpx_gt_i32_e64 s37, v0
	s_cbranch_execz .LBB73_7
; %bb.25:                               ;   in Loop: Header=BB73_8 Depth=1
	v_dual_mov_b32 v7, v13 :: v_dual_mov_b32 v8, v0
	s_add_i32 s38, s38, 16
	s_mov_b32 s1, 0
	s_set_inst_prefetch_distance 0x1
	.p2align	6
.LBB73_26:                              ;   Parent Loop BB73_8 Depth=1
                                        ; =>  This Loop Header: Depth=2
                                        ;       Child Loop BB73_27 Depth 3
	v_mov_b32_e32 v3, 0
	v_dual_mov_b32 v4, 0 :: v_dual_mov_b32 v9, v7
	s_mov_b32 s5, -1
	s_mov_b32 s4, 0
	s_mov_b32 s6, 0
	s_delay_alu instid0(VALU_DEP_1)
	v_dual_mov_b32 v6, v4 :: v_dual_mov_b32 v5, v3
	.p2align	6
.LBB73_27:                              ;   Parent Loop BB73_8 Depth=1
                                        ;     Parent Loop BB73_26 Depth=2
                                        ; =>    This Inner Loop Header: Depth=3
	v_mov_b32_e32 v18, s6
	s_add_i32 s5, s5, 1
	s_add_i32 s6, s6, 16
	v_cmp_eq_u32_e32 vcc_lo, s5, v8
	ds_load_2addr_b64 v[14:17], v9 offset1:1
	ds_load_2addr_b64 v[18:21], v18 offset1:1
	v_add_nc_u32_e32 v9, s28, v9
	s_or_b32 s4, vcc_lo, s4
	s_waitcnt lgkmcnt(0)
	v_mul_f64 v[22:23], v[20:21], v[16:17]
	v_mul_f64 v[16:17], v[18:19], v[16:17]
	s_delay_alu instid0(VALU_DEP_2) | instskip(NEXT) | instid1(VALU_DEP_2)
	v_fma_f64 v[18:19], v[18:19], v[14:15], -v[22:23]
	v_fma_f64 v[14:15], v[20:21], v[14:15], v[16:17]
	s_delay_alu instid0(VALU_DEP_2) | instskip(NEXT) | instid1(VALU_DEP_2)
	v_add_f64 v[3:4], v[3:4], v[18:19]
	v_add_f64 v[5:6], v[5:6], v[14:15]
	s_and_not1_b32 exec_lo, exec_lo, s4
	s_cbranch_execnz .LBB73_27
; %bb.28:                               ;   in Loop: Header=BB73_26 Depth=2
	s_or_b32 exec_lo, exec_lo, s4
	v_lshl_add_u32 v9, v8, 4, s38
	v_add_nc_u32_e32 v8, s19, v8
	v_add_nc_u32_e32 v7, s22, v7
	ds_store_2addr_b64 v9, v[3:4], v[5:6] offset1:1
	v_cmp_le_i32_e32 vcc_lo, s37, v8
	s_or_b32 s1, vcc_lo, s1
	s_delay_alu instid0(SALU_CYCLE_1)
	s_and_not1_b32 exec_lo, exec_lo, s1
	s_cbranch_execnz .LBB73_26
	s_branch .LBB73_7
.LBB73_29:
	s_and_saveexec_b32 s0, s2
	s_cbranch_execz .LBB73_34
; %bb.30:
	s_lshl_b32 s1, s18, 4
	s_mov_b32 s2, 0
	v_add3_u32 v3, 0, s1, v11
	s_lshl_b32 s4, s19, 4
	.p2align	6
.LBB73_31:                              ; =>This Loop Header: Depth=1
                                        ;     Child Loop BB73_32 Depth 2
	s_delay_alu instid0(VALU_DEP_1)
	v_dual_mov_b32 v4, v3 :: v_dual_mov_b32 v1, v0
	s_mov_b32 s5, 0
	s_mov_b32 s6, 0
	.p2align	6
.LBB73_32:                              ;   Parent Loop BB73_31 Depth=1
                                        ; =>  This Inner Loop Header: Depth=2
	ds_load_2addr_b64 v[5:8], v4 offset1:1
	v_ashrrev_i32_e32 v2, 31, v1
	s_add_i32 s6, s6, 1
	v_add_nc_u32_e32 v4, s1, v4
	v_cmp_eq_u32_e32 vcc_lo, s6, v10
	s_delay_alu instid0(VALU_DEP_3) | instskip(SKIP_2) | instid1(VALU_DEP_2)
	v_lshlrev_b64 v[11:12], 4, v[1:2]
	v_add_nc_u32_e32 v1, s3, v1
	s_or_b32 s5, vcc_lo, s5
	v_add_co_u32 v11, s0, s24, v11
	s_delay_alu instid0(VALU_DEP_1)
	v_add_co_ci_u32_e64 v12, s0, s25, v12, s0
	s_waitcnt lgkmcnt(0)
	global_store_b128 v[11:12], v[5:8], off
	s_and_not1_b32 exec_lo, exec_lo, s5
	s_cbranch_execnz .LBB73_32
; %bb.33:                               ;   in Loop: Header=BB73_31 Depth=1
	s_or_b32 exec_lo, exec_lo, s5
	v_add_nc_u32_e32 v0, s19, v0
	v_add_nc_u32_e32 v10, s19, v10
	;; [unrolled: 1-line block ×3, first 2 shown]
	s_delay_alu instid0(VALU_DEP_3) | instskip(SKIP_1) | instid1(SALU_CYCLE_1)
	v_cmp_le_i32_e32 vcc_lo, s18, v0
	s_or_b32 s2, vcc_lo, s2
	s_and_not1_b32 exec_lo, exec_lo, s2
	s_cbranch_execnz .LBB73_31
.LBB73_34:
	s_nop 0
	s_sendmsg sendmsg(MSG_DEALLOC_VGPRS)
	s_endpgm
	.section	.rodata,"a",@progbits
	.p2align	6, 0x0
	.amdhsa_kernel _ZN9rocsolver6v33100L21larft_kernel_backwardI19rocblas_complex_numIdEPS3_EEv15rocblas_storev_iiT0_iilPT_lS8_il
		.amdhsa_group_segment_fixed_size 0
		.amdhsa_private_segment_fixed_size 0
		.amdhsa_kernarg_size 336
		.amdhsa_user_sgpr_count 14
		.amdhsa_user_sgpr_dispatch_ptr 0
		.amdhsa_user_sgpr_queue_ptr 0
		.amdhsa_user_sgpr_kernarg_segment_ptr 1
		.amdhsa_user_sgpr_dispatch_id 0
		.amdhsa_user_sgpr_private_segment_size 0
		.amdhsa_wavefront_size32 1
		.amdhsa_uses_dynamic_stack 0
		.amdhsa_enable_private_segment 0
		.amdhsa_system_sgpr_workgroup_id_x 1
		.amdhsa_system_sgpr_workgroup_id_y 1
		.amdhsa_system_sgpr_workgroup_id_z 0
		.amdhsa_system_sgpr_workgroup_info 0
		.amdhsa_system_vgpr_workitem_id 0
		.amdhsa_next_free_vgpr 24
		.amdhsa_next_free_sgpr 52
		.amdhsa_reserve_vcc 1
		.amdhsa_float_round_mode_32 0
		.amdhsa_float_round_mode_16_64 0
		.amdhsa_float_denorm_mode_32 3
		.amdhsa_float_denorm_mode_16_64 3
		.amdhsa_dx10_clamp 1
		.amdhsa_ieee_mode 1
		.amdhsa_fp16_overflow 0
		.amdhsa_workgroup_processor_mode 1
		.amdhsa_memory_ordered 1
		.amdhsa_forward_progress 0
		.amdhsa_shared_vgpr_count 0
		.amdhsa_exception_fp_ieee_invalid_op 0
		.amdhsa_exception_fp_denorm_src 0
		.amdhsa_exception_fp_ieee_div_zero 0
		.amdhsa_exception_fp_ieee_overflow 0
		.amdhsa_exception_fp_ieee_underflow 0
		.amdhsa_exception_fp_ieee_inexact 0
		.amdhsa_exception_int_div_zero 0
	.end_amdhsa_kernel
	.section	.text._ZN9rocsolver6v33100L21larft_kernel_backwardI19rocblas_complex_numIdEPS3_EEv15rocblas_storev_iiT0_iilPT_lS8_il,"axG",@progbits,_ZN9rocsolver6v33100L21larft_kernel_backwardI19rocblas_complex_numIdEPS3_EEv15rocblas_storev_iiT0_iilPT_lS8_il,comdat
.Lfunc_end73:
	.size	_ZN9rocsolver6v33100L21larft_kernel_backwardI19rocblas_complex_numIdEPS3_EEv15rocblas_storev_iiT0_iilPT_lS8_il, .Lfunc_end73-_ZN9rocsolver6v33100L21larft_kernel_backwardI19rocblas_complex_numIdEPS3_EEv15rocblas_storev_iiT0_iilPT_lS8_il
                                        ; -- End function
	.section	.AMDGPU.csdata,"",@progbits
; Kernel info:
; codeLenInByte = 1952
; NumSgprs: 54
; NumVgprs: 24
; ScratchSize: 0
; MemoryBound: 0
; FloatMode: 240
; IeeeMode: 1
; LDSByteSize: 0 bytes/workgroup (compile time only)
; SGPRBlocks: 6
; VGPRBlocks: 2
; NumSGPRsForWavesPerEU: 54
; NumVGPRsForWavesPerEU: 24
; Occupancy: 16
; WaveLimiterHint : 0
; COMPUTE_PGM_RSRC2:SCRATCH_EN: 0
; COMPUTE_PGM_RSRC2:USER_SGPR: 14
; COMPUTE_PGM_RSRC2:TRAP_HANDLER: 0
; COMPUTE_PGM_RSRC2:TGID_X_EN: 1
; COMPUTE_PGM_RSRC2:TGID_Y_EN: 1
; COMPUTE_PGM_RSRC2:TGID_Z_EN: 0
; COMPUTE_PGM_RSRC2:TIDIG_COMP_CNT: 0
	.section	.text._ZN9rocsolver6v33100L9copymatA1I19rocblas_complex_numIdEPS3_EEviiT0_iilPT_,"axG",@progbits,_ZN9rocsolver6v33100L9copymatA1I19rocblas_complex_numIdEPS3_EEviiT0_iilPT_,comdat
	.globl	_ZN9rocsolver6v33100L9copymatA1I19rocblas_complex_numIdEPS3_EEviiT0_iilPT_ ; -- Begin function _ZN9rocsolver6v33100L9copymatA1I19rocblas_complex_numIdEPS3_EEviiT0_iilPT_
	.p2align	8
	.type	_ZN9rocsolver6v33100L9copymatA1I19rocblas_complex_numIdEPS3_EEviiT0_iilPT_,@function
_ZN9rocsolver6v33100L9copymatA1I19rocblas_complex_numIdEPS3_EEviiT0_iilPT_: ; @_ZN9rocsolver6v33100L9copymatA1I19rocblas_complex_numIdEPS3_EEviiT0_iilPT_
; %bb.0:
	s_clause 0x1
	s_load_b32 s2, s[0:1], 0x34
	s_load_b64 s[8:9], s[0:1], 0x0
	v_bfe_u32 v2, v0, 10, 10
	v_and_b32_e32 v3, 0x3ff, v0
	s_waitcnt lgkmcnt(0)
	s_lshr_b32 s3, s2, 16
	s_and_b32 s2, s2, 0xffff
	s_delay_alu instid0(VALU_DEP_1) | instskip(SKIP_1) | instid1(VALU_DEP_2)
	v_mad_u64_u32 v[0:1], null, s14, s3, v[2:3]
	v_mad_u64_u32 v[1:2], null, s13, s2, v[3:4]
	v_cmp_gt_u32_e32 vcc_lo, s8, v0
	s_delay_alu instid0(VALU_DEP_2) | instskip(NEXT) | instid1(VALU_DEP_1)
	v_cmp_gt_u32_e64 s2, s9, v1
	s_and_b32 s2, s2, vcc_lo
	s_delay_alu instid0(SALU_CYCLE_1)
	s_and_saveexec_b32 s3, s2
	s_cbranch_execz .LBB74_2
; %bb.1:
	s_load_b256 s[0:7], s[0:1], 0x8
	s_ashr_i32 s10, s8, 31
	s_ashr_i32 s11, s9, 31
	s_mul_hi_u32 s12, s8, s15
	s_mul_i32 s13, s8, s15
	s_mul_i32 s10, s10, s15
	;; [unrolled: 1-line block ×3, first 2 shown]
	s_mul_hi_u32 s14, s13, s9
	s_add_i32 s10, s12, s10
	s_add_i32 s11, s14, s11
	s_mul_i32 s12, s10, s9
	s_mul_i32 s10, s13, s9
	s_add_i32 s11, s11, s12
	v_mad_u64_u32 v[7:8], null, v1, s8, v[0:1]
	s_lshl_b64 s[10:11], s[10:11], 4
	s_waitcnt lgkmcnt(0)
	v_mad_u64_u32 v[5:6], null, v1, s3, v[0:1]
	s_add_u32 s9, s6, s10
	s_mul_i32 s5, s15, s5
	s_mul_hi_u32 s10, s15, s4
	v_mov_b32_e32 v6, 0
	s_mul_i32 s4, s15, s4
	s_addc_u32 s3, s7, s11
	s_add_i32 s5, s10, s5
	s_mov_b32 s6, s2
	s_lshl_b64 s[4:5], s[4:5], 4
	s_ashr_i32 s7, s2, 31
	v_lshlrev_b64 v[2:3], 4, v[5:6]
	s_add_u32 s2, s0, s4
	s_addc_u32 s4, s1, s5
	s_lshl_b64 s[0:1], s[6:7], 4
	v_mov_b32_e32 v8, v6
	s_add_u32 s0, s2, s0
	s_addc_u32 s1, s4, s1
	v_add_co_u32 v2, vcc_lo, s0, v2
	v_add_co_ci_u32_e32 v3, vcc_lo, s1, v3, vcc_lo
	v_lshlrev_b64 v[0:1], 4, v[7:8]
	global_load_b128 v[2:5], v[2:3], off
	v_add_co_u32 v0, vcc_lo, s9, v0
	v_add_co_ci_u32_e32 v1, vcc_lo, s3, v1, vcc_lo
	s_waitcnt vmcnt(0)
	global_store_b128 v[0:1], v[2:5], off
.LBB74_2:
	s_nop 0
	s_sendmsg sendmsg(MSG_DEALLOC_VGPRS)
	s_endpgm
	.section	.rodata,"a",@progbits
	.p2align	6, 0x0
	.amdhsa_kernel _ZN9rocsolver6v33100L9copymatA1I19rocblas_complex_numIdEPS3_EEviiT0_iilPT_
		.amdhsa_group_segment_fixed_size 0
		.amdhsa_private_segment_fixed_size 0
		.amdhsa_kernarg_size 296
		.amdhsa_user_sgpr_count 13
		.amdhsa_user_sgpr_dispatch_ptr 0
		.amdhsa_user_sgpr_queue_ptr 0
		.amdhsa_user_sgpr_kernarg_segment_ptr 1
		.amdhsa_user_sgpr_dispatch_id 0
		.amdhsa_user_sgpr_private_segment_size 0
		.amdhsa_wavefront_size32 1
		.amdhsa_uses_dynamic_stack 0
		.amdhsa_enable_private_segment 0
		.amdhsa_system_sgpr_workgroup_id_x 1
		.amdhsa_system_sgpr_workgroup_id_y 1
		.amdhsa_system_sgpr_workgroup_id_z 1
		.amdhsa_system_sgpr_workgroup_info 0
		.amdhsa_system_vgpr_workitem_id 1
		.amdhsa_next_free_vgpr 9
		.amdhsa_next_free_sgpr 16
		.amdhsa_reserve_vcc 1
		.amdhsa_float_round_mode_32 0
		.amdhsa_float_round_mode_16_64 0
		.amdhsa_float_denorm_mode_32 3
		.amdhsa_float_denorm_mode_16_64 3
		.amdhsa_dx10_clamp 1
		.amdhsa_ieee_mode 1
		.amdhsa_fp16_overflow 0
		.amdhsa_workgroup_processor_mode 1
		.amdhsa_memory_ordered 1
		.amdhsa_forward_progress 0
		.amdhsa_shared_vgpr_count 0
		.amdhsa_exception_fp_ieee_invalid_op 0
		.amdhsa_exception_fp_denorm_src 0
		.amdhsa_exception_fp_ieee_div_zero 0
		.amdhsa_exception_fp_ieee_overflow 0
		.amdhsa_exception_fp_ieee_underflow 0
		.amdhsa_exception_fp_ieee_inexact 0
		.amdhsa_exception_int_div_zero 0
	.end_amdhsa_kernel
	.section	.text._ZN9rocsolver6v33100L9copymatA1I19rocblas_complex_numIdEPS3_EEviiT0_iilPT_,"axG",@progbits,_ZN9rocsolver6v33100L9copymatA1I19rocblas_complex_numIdEPS3_EEviiT0_iilPT_,comdat
.Lfunc_end74:
	.size	_ZN9rocsolver6v33100L9copymatA1I19rocblas_complex_numIdEPS3_EEviiT0_iilPT_, .Lfunc_end74-_ZN9rocsolver6v33100L9copymatA1I19rocblas_complex_numIdEPS3_EEviiT0_iilPT_
                                        ; -- End function
	.section	.AMDGPU.csdata,"",@progbits
; Kernel info:
; codeLenInByte = 320
; NumSgprs: 18
; NumVgprs: 9
; ScratchSize: 0
; MemoryBound: 0
; FloatMode: 240
; IeeeMode: 1
; LDSByteSize: 0 bytes/workgroup (compile time only)
; SGPRBlocks: 2
; VGPRBlocks: 1
; NumSGPRsForWavesPerEU: 18
; NumVGPRsForWavesPerEU: 9
; Occupancy: 16
; WaveLimiterHint : 0
; COMPUTE_PGM_RSRC2:SCRATCH_EN: 0
; COMPUTE_PGM_RSRC2:USER_SGPR: 13
; COMPUTE_PGM_RSRC2:TRAP_HANDLER: 0
; COMPUTE_PGM_RSRC2:TGID_X_EN: 1
; COMPUTE_PGM_RSRC2:TGID_Y_EN: 1
; COMPUTE_PGM_RSRC2:TGID_Z_EN: 1
; COMPUTE_PGM_RSRC2:TIDIG_COMP_CNT: 1
	.section	.text._ZN9rocsolver6v33100L8addmatA1I19rocblas_complex_numIdEPS3_EEviiT0_iilPT_,"axG",@progbits,_ZN9rocsolver6v33100L8addmatA1I19rocblas_complex_numIdEPS3_EEviiT0_iilPT_,comdat
	.globl	_ZN9rocsolver6v33100L8addmatA1I19rocblas_complex_numIdEPS3_EEviiT0_iilPT_ ; -- Begin function _ZN9rocsolver6v33100L8addmatA1I19rocblas_complex_numIdEPS3_EEviiT0_iilPT_
	.p2align	8
	.type	_ZN9rocsolver6v33100L8addmatA1I19rocblas_complex_numIdEPS3_EEviiT0_iilPT_,@function
_ZN9rocsolver6v33100L8addmatA1I19rocblas_complex_numIdEPS3_EEviiT0_iilPT_: ; @_ZN9rocsolver6v33100L8addmatA1I19rocblas_complex_numIdEPS3_EEviiT0_iilPT_
; %bb.0:
	s_clause 0x1
	s_load_b32 s2, s[0:1], 0x34
	s_load_b64 s[8:9], s[0:1], 0x0
	v_bfe_u32 v2, v0, 10, 10
	v_and_b32_e32 v3, 0x3ff, v0
	s_waitcnt lgkmcnt(0)
	s_lshr_b32 s3, s2, 16
	s_and_b32 s2, s2, 0xffff
	s_delay_alu instid0(VALU_DEP_1) | instskip(SKIP_1) | instid1(VALU_DEP_2)
	v_mad_u64_u32 v[0:1], null, s14, s3, v[2:3]
	v_mad_u64_u32 v[1:2], null, s13, s2, v[3:4]
	v_cmp_gt_u32_e32 vcc_lo, s8, v0
	s_delay_alu instid0(VALU_DEP_2) | instskip(NEXT) | instid1(VALU_DEP_1)
	v_cmp_gt_u32_e64 s2, s9, v1
	s_and_b32 s2, s2, vcc_lo
	s_delay_alu instid0(SALU_CYCLE_1)
	s_and_saveexec_b32 s3, s2
	s_cbranch_execz .LBB75_2
; %bb.1:
	s_load_b256 s[0:7], s[0:1], 0x8
	s_ashr_i32 s10, s8, 31
	s_ashr_i32 s11, s9, 31
	s_mul_hi_u32 s12, s8, s15
	s_mul_i32 s13, s8, s15
	s_mul_i32 s10, s10, s15
	;; [unrolled: 1-line block ×3, first 2 shown]
	s_mul_hi_u32 s14, s13, s9
	s_add_i32 s10, s12, s10
	s_add_i32 s11, s14, s11
	s_mul_i32 s12, s10, s9
	v_mad_u64_u32 v[2:3], null, v1, s8, v[0:1]
	v_mov_b32_e32 v3, 0
	s_mul_i32 s10, s13, s9
	s_add_i32 s11, s11, s12
	s_delay_alu instid0(SALU_CYCLE_1)
	s_lshl_b64 s[8:9], s[10:11], 4
	s_waitcnt lgkmcnt(0)
	v_mad_u64_u32 v[4:5], null, v1, s3, v[0:1]
	s_add_u32 s8, s6, s8
	s_mul_i32 s5, s15, s5
	s_mul_hi_u32 s6, s15, s4
	v_mov_b32_e32 v5, v3
	s_mul_i32 s4, s15, s4
	s_addc_u32 s9, s7, s9
	s_add_i32 s5, s6, s5
	v_lshlrev_b64 v[0:1], 4, v[2:3]
	s_lshl_b64 s[4:5], s[4:5], 4
	s_mov_b32 s6, s2
	s_ashr_i32 s7, s2, 31
	v_lshlrev_b64 v[2:3], 4, v[4:5]
	s_add_u32 s2, s0, s4
	s_addc_u32 s3, s1, s5
	s_lshl_b64 s[0:1], s[6:7], 4
	v_add_co_u32 v0, vcc_lo, s8, v0
	s_add_u32 s0, s2, s0
	v_add_co_ci_u32_e32 v1, vcc_lo, s9, v1, vcc_lo
	s_addc_u32 s1, s3, s1
	v_add_co_u32 v8, vcc_lo, s0, v2
	v_add_co_ci_u32_e32 v9, vcc_lo, s1, v3, vcc_lo
	global_load_b128 v[0:3], v[0:1], off
	global_load_b128 v[4:7], v[8:9], off
	s_waitcnt vmcnt(0)
	v_add_f64 v[0:1], v[4:5], -v[0:1]
	v_add_f64 v[2:3], v[6:7], -v[2:3]
	global_store_b128 v[8:9], v[0:3], off
.LBB75_2:
	s_nop 0
	s_sendmsg sendmsg(MSG_DEALLOC_VGPRS)
	s_endpgm
	.section	.rodata,"a",@progbits
	.p2align	6, 0x0
	.amdhsa_kernel _ZN9rocsolver6v33100L8addmatA1I19rocblas_complex_numIdEPS3_EEviiT0_iilPT_
		.amdhsa_group_segment_fixed_size 0
		.amdhsa_private_segment_fixed_size 0
		.amdhsa_kernarg_size 296
		.amdhsa_user_sgpr_count 13
		.amdhsa_user_sgpr_dispatch_ptr 0
		.amdhsa_user_sgpr_queue_ptr 0
		.amdhsa_user_sgpr_kernarg_segment_ptr 1
		.amdhsa_user_sgpr_dispatch_id 0
		.amdhsa_user_sgpr_private_segment_size 0
		.amdhsa_wavefront_size32 1
		.amdhsa_uses_dynamic_stack 0
		.amdhsa_enable_private_segment 0
		.amdhsa_system_sgpr_workgroup_id_x 1
		.amdhsa_system_sgpr_workgroup_id_y 1
		.amdhsa_system_sgpr_workgroup_id_z 1
		.amdhsa_system_sgpr_workgroup_info 0
		.amdhsa_system_vgpr_workitem_id 1
		.amdhsa_next_free_vgpr 10
		.amdhsa_next_free_sgpr 16
		.amdhsa_reserve_vcc 1
		.amdhsa_float_round_mode_32 0
		.amdhsa_float_round_mode_16_64 0
		.amdhsa_float_denorm_mode_32 3
		.amdhsa_float_denorm_mode_16_64 3
		.amdhsa_dx10_clamp 1
		.amdhsa_ieee_mode 1
		.amdhsa_fp16_overflow 0
		.amdhsa_workgroup_processor_mode 1
		.amdhsa_memory_ordered 1
		.amdhsa_forward_progress 0
		.amdhsa_shared_vgpr_count 0
		.amdhsa_exception_fp_ieee_invalid_op 0
		.amdhsa_exception_fp_denorm_src 0
		.amdhsa_exception_fp_ieee_div_zero 0
		.amdhsa_exception_fp_ieee_overflow 0
		.amdhsa_exception_fp_ieee_underflow 0
		.amdhsa_exception_fp_ieee_inexact 0
		.amdhsa_exception_int_div_zero 0
	.end_amdhsa_kernel
	.section	.text._ZN9rocsolver6v33100L8addmatA1I19rocblas_complex_numIdEPS3_EEviiT0_iilPT_,"axG",@progbits,_ZN9rocsolver6v33100L8addmatA1I19rocblas_complex_numIdEPS3_EEviiT0_iilPT_,comdat
.Lfunc_end75:
	.size	_ZN9rocsolver6v33100L8addmatA1I19rocblas_complex_numIdEPS3_EEviiT0_iilPT_, .Lfunc_end75-_ZN9rocsolver6v33100L8addmatA1I19rocblas_complex_numIdEPS3_EEviiT0_iilPT_
                                        ; -- End function
	.section	.AMDGPU.csdata,"",@progbits
; Kernel info:
; codeLenInByte = 348
; NumSgprs: 18
; NumVgprs: 10
; ScratchSize: 0
; MemoryBound: 0
; FloatMode: 240
; IeeeMode: 1
; LDSByteSize: 0 bytes/workgroup (compile time only)
; SGPRBlocks: 2
; VGPRBlocks: 1
; NumSGPRsForWavesPerEU: 18
; NumVGPRsForWavesPerEU: 10
; Occupancy: 16
; WaveLimiterHint : 0
; COMPUTE_PGM_RSRC2:SCRATCH_EN: 0
; COMPUTE_PGM_RSRC2:USER_SGPR: 13
; COMPUTE_PGM_RSRC2:TRAP_HANDLER: 0
; COMPUTE_PGM_RSRC2:TGID_X_EN: 1
; COMPUTE_PGM_RSRC2:TGID_Y_EN: 1
; COMPUTE_PGM_RSRC2:TGID_Z_EN: 1
; COMPUTE_PGM_RSRC2:TIDIG_COMP_CNT: 1
	.section	.text._ZN9rocsolver6v33100L8set_diagI19rocblas_complex_numIdEiS3_PS3_TnNSt9enable_ifIXoont18rocblas_is_complexIT_E18rocblas_is_complexIT1_EEiE4typeELi0EEEvPS7_llT2_lT0_lSC_b,"axG",@progbits,_ZN9rocsolver6v33100L8set_diagI19rocblas_complex_numIdEiS3_PS3_TnNSt9enable_ifIXoont18rocblas_is_complexIT_E18rocblas_is_complexIT1_EEiE4typeELi0EEEvPS7_llT2_lT0_lSC_b,comdat
	.globl	_ZN9rocsolver6v33100L8set_diagI19rocblas_complex_numIdEiS3_PS3_TnNSt9enable_ifIXoont18rocblas_is_complexIT_E18rocblas_is_complexIT1_EEiE4typeELi0EEEvPS7_llT2_lT0_lSC_b ; -- Begin function _ZN9rocsolver6v33100L8set_diagI19rocblas_complex_numIdEiS3_PS3_TnNSt9enable_ifIXoont18rocblas_is_complexIT_E18rocblas_is_complexIT1_EEiE4typeELi0EEEvPS7_llT2_lT0_lSC_b
	.p2align	8
	.type	_ZN9rocsolver6v33100L8set_diagI19rocblas_complex_numIdEiS3_PS3_TnNSt9enable_ifIXoont18rocblas_is_complexIT_E18rocblas_is_complexIT1_EEiE4typeELi0EEEvPS7_llT2_lT0_lSC_b,@function
_ZN9rocsolver6v33100L8set_diagI19rocblas_complex_numIdEiS3_PS3_TnNSt9enable_ifIXoont18rocblas_is_complexIT_E18rocblas_is_complexIT1_EEiE4typeELi0EEEvPS7_llT2_lT0_lSC_b: ; @_ZN9rocsolver6v33100L8set_diagI19rocblas_complex_numIdEiS3_PS3_TnNSt9enable_ifIXoont18rocblas_is_complexIT_E18rocblas_is_complexIT1_EEiE4typeELi0EEEvPS7_llT2_lT0_lSC_b
; %bb.0:
	s_clause 0x1
	s_load_b32 s4, s[0:1], 0x4c
	s_load_b64 s[2:3], s[0:1], 0x38
	v_bfe_u32 v2, v0, 10, 10
	s_waitcnt lgkmcnt(0)
	s_lshr_b32 s4, s4, 16
	s_delay_alu instid0(VALU_DEP_1) | instid1(SALU_CYCLE_1)
	v_mad_u64_u32 v[0:1], null, s15, s4, v[2:3]
	s_delay_alu instid0(VALU_DEP_1)
	v_cmp_gt_i32_e32 vcc_lo, s2, v0
	s_and_saveexec_b32 s2, vcc_lo
	s_cbranch_execz .LBB76_5
; %bb.1:
	s_clause 0x3
	s_load_b32 s2, s[0:1], 0x28
	s_load_b64 s[12:13], s[0:1], 0x30
	s_load_b256 s[4:11], s[0:1], 0x0
	s_load_b64 s[0:1], s[0:1], 0x20
	s_bitcmp1_b32 s3, 0
	s_cselect_b32 s15, -1, 0
	s_ashr_i32 s16, s14, 31
	s_waitcnt lgkmcnt(0)
	v_mad_u64_u32 v[1:2], null, v0, s2, v[0:1]
	s_mul_i32 s2, s14, s13
	s_mul_hi_u32 s3, s14, s12
	s_mul_i32 s13, s16, s12
	s_add_i32 s3, s3, s2
	s_mul_i32 s2, s14, s12
	s_add_i32 s3, s3, s13
	s_delay_alu instid0(VALU_DEP_1)
	v_ashrrev_i32_e32 v2, 31, v1
	s_lshl_b64 s[2:3], s[2:3], 4
	s_mul_i32 s16, s16, s8
	s_add_u32 s2, s10, s2
	s_addc_u32 s3, s11, s3
	v_lshlrev_b64 v[1:2], 4, v[1:2]
	s_lshl_b64 s[0:1], s[0:1], 4
	s_delay_alu instid0(SALU_CYCLE_1) | instskip(SKIP_1) | instid1(VALU_DEP_1)
	s_add_u32 s0, s2, s0
	s_addc_u32 s1, s3, s1
	v_add_co_u32 v4, vcc_lo, s0, v1
	s_delay_alu instid0(VALU_DEP_2)
	v_add_co_ci_u32_e32 v5, vcc_lo, s1, v2, vcc_lo
	s_mul_i32 s0, s14, s9
	s_mul_hi_u32 s1, s14, s8
	v_ashrrev_i32_e32 v1, 31, v0
	global_load_b128 v[6:9], v[4:5], off
	s_add_i32 s1, s1, s0
	s_mul_i32 s0, s14, s8
	s_add_i32 s1, s1, s16
	v_lshlrev_b64 v[0:1], 4, v[0:1]
	s_lshl_b64 s[0:1], s[0:1], 4
	s_delay_alu instid0(SALU_CYCLE_1) | instskip(SKIP_2) | instid1(SALU_CYCLE_1)
	s_add_u32 s2, s4, s0
	s_addc_u32 s3, s5, s1
	s_lshl_b64 s[0:1], s[6:7], 4
	s_add_u32 s0, s2, s0
	s_addc_u32 s1, s3, s1
	v_add_co_u32 v0, vcc_lo, s0, v0
	v_add_co_ci_u32_e32 v1, vcc_lo, s1, v1, vcc_lo
	s_and_b32 vcc_lo, exec_lo, s15
	s_waitcnt vmcnt(0)
	global_store_b128 v[0:1], v[6:9], off
	s_cbranch_vccnz .LBB76_3
; %bb.2:
	global_load_b128 v[0:3], v[4:5], off
	s_branch .LBB76_4
.LBB76_3:
	v_mov_b32_e32 v2, 0
	v_dual_mov_b32 v3, 0 :: v_dual_mov_b32 v0, 0
	v_mov_b32_e32 v1, 0x3ff00000
.LBB76_4:
	s_waitcnt vmcnt(0)
	global_store_b128 v[4:5], v[0:3], off
.LBB76_5:
	s_nop 0
	s_sendmsg sendmsg(MSG_DEALLOC_VGPRS)
	s_endpgm
	.section	.rodata,"a",@progbits
	.p2align	6, 0x0
	.amdhsa_kernel _ZN9rocsolver6v33100L8set_diagI19rocblas_complex_numIdEiS3_PS3_TnNSt9enable_ifIXoont18rocblas_is_complexIT_E18rocblas_is_complexIT1_EEiE4typeELi0EEEvPS7_llT2_lT0_lSC_b
		.amdhsa_group_segment_fixed_size 0
		.amdhsa_private_segment_fixed_size 0
		.amdhsa_kernarg_size 320
		.amdhsa_user_sgpr_count 14
		.amdhsa_user_sgpr_dispatch_ptr 0
		.amdhsa_user_sgpr_queue_ptr 0
		.amdhsa_user_sgpr_kernarg_segment_ptr 1
		.amdhsa_user_sgpr_dispatch_id 0
		.amdhsa_user_sgpr_private_segment_size 0
		.amdhsa_wavefront_size32 1
		.amdhsa_uses_dynamic_stack 0
		.amdhsa_enable_private_segment 0
		.amdhsa_system_sgpr_workgroup_id_x 1
		.amdhsa_system_sgpr_workgroup_id_y 1
		.amdhsa_system_sgpr_workgroup_id_z 0
		.amdhsa_system_sgpr_workgroup_info 0
		.amdhsa_system_vgpr_workitem_id 1
		.amdhsa_next_free_vgpr 10
		.amdhsa_next_free_sgpr 17
		.amdhsa_reserve_vcc 1
		.amdhsa_float_round_mode_32 0
		.amdhsa_float_round_mode_16_64 0
		.amdhsa_float_denorm_mode_32 3
		.amdhsa_float_denorm_mode_16_64 3
		.amdhsa_dx10_clamp 1
		.amdhsa_ieee_mode 1
		.amdhsa_fp16_overflow 0
		.amdhsa_workgroup_processor_mode 1
		.amdhsa_memory_ordered 1
		.amdhsa_forward_progress 0
		.amdhsa_shared_vgpr_count 0
		.amdhsa_exception_fp_ieee_invalid_op 0
		.amdhsa_exception_fp_denorm_src 0
		.amdhsa_exception_fp_ieee_div_zero 0
		.amdhsa_exception_fp_ieee_overflow 0
		.amdhsa_exception_fp_ieee_underflow 0
		.amdhsa_exception_fp_ieee_inexact 0
		.amdhsa_exception_int_div_zero 0
	.end_amdhsa_kernel
	.section	.text._ZN9rocsolver6v33100L8set_diagI19rocblas_complex_numIdEiS3_PS3_TnNSt9enable_ifIXoont18rocblas_is_complexIT_E18rocblas_is_complexIT1_EEiE4typeELi0EEEvPS7_llT2_lT0_lSC_b,"axG",@progbits,_ZN9rocsolver6v33100L8set_diagI19rocblas_complex_numIdEiS3_PS3_TnNSt9enable_ifIXoont18rocblas_is_complexIT_E18rocblas_is_complexIT1_EEiE4typeELi0EEEvPS7_llT2_lT0_lSC_b,comdat
.Lfunc_end76:
	.size	_ZN9rocsolver6v33100L8set_diagI19rocblas_complex_numIdEiS3_PS3_TnNSt9enable_ifIXoont18rocblas_is_complexIT_E18rocblas_is_complexIT1_EEiE4typeELi0EEEvPS7_llT2_lT0_lSC_b, .Lfunc_end76-_ZN9rocsolver6v33100L8set_diagI19rocblas_complex_numIdEiS3_PS3_TnNSt9enable_ifIXoont18rocblas_is_complexIT_E18rocblas_is_complexIT1_EEiE4typeELi0EEEvPS7_llT2_lT0_lSC_b
                                        ; -- End function
	.section	.AMDGPU.csdata,"",@progbits
; Kernel info:
; codeLenInByte = 368
; NumSgprs: 19
; NumVgprs: 10
; ScratchSize: 0
; MemoryBound: 1
; FloatMode: 240
; IeeeMode: 1
; LDSByteSize: 0 bytes/workgroup (compile time only)
; SGPRBlocks: 2
; VGPRBlocks: 1
; NumSGPRsForWavesPerEU: 19
; NumVGPRsForWavesPerEU: 10
; Occupancy: 16
; WaveLimiterHint : 0
; COMPUTE_PGM_RSRC2:SCRATCH_EN: 0
; COMPUTE_PGM_RSRC2:USER_SGPR: 14
; COMPUTE_PGM_RSRC2:TRAP_HANDLER: 0
; COMPUTE_PGM_RSRC2:TGID_X_EN: 1
; COMPUTE_PGM_RSRC2:TGID_Y_EN: 1
; COMPUTE_PGM_RSRC2:TGID_Z_EN: 0
; COMPUTE_PGM_RSRC2:TIDIG_COMP_CNT: 1
	.section	.text._ZN9rocsolver6v33100L12restore_diagI19rocblas_complex_numIdEiS3_PS3_EEvPT1_llT2_lT0_lS8_,"axG",@progbits,_ZN9rocsolver6v33100L12restore_diagI19rocblas_complex_numIdEiS3_PS3_EEvPT1_llT2_lT0_lS8_,comdat
	.globl	_ZN9rocsolver6v33100L12restore_diagI19rocblas_complex_numIdEiS3_PS3_EEvPT1_llT2_lT0_lS8_ ; -- Begin function _ZN9rocsolver6v33100L12restore_diagI19rocblas_complex_numIdEiS3_PS3_EEvPT1_llT2_lT0_lS8_
	.p2align	8
	.type	_ZN9rocsolver6v33100L12restore_diagI19rocblas_complex_numIdEiS3_PS3_EEvPT1_llT2_lT0_lS8_,@function
_ZN9rocsolver6v33100L12restore_diagI19rocblas_complex_numIdEiS3_PS3_EEvPT1_llT2_lT0_lS8_: ; @_ZN9rocsolver6v33100L12restore_diagI19rocblas_complex_numIdEiS3_PS3_EEvPT1_llT2_lT0_lS8_
; %bb.0:
	s_clause 0x1
	s_load_b32 s2, s[0:1], 0x4c
	s_load_b32 s3, s[0:1], 0x38
	v_bfe_u32 v2, v0, 10, 10
	s_waitcnt lgkmcnt(0)
	s_lshr_b32 s2, s2, 16
	s_delay_alu instid0(VALU_DEP_1) | instid1(SALU_CYCLE_1)
	v_mad_u64_u32 v[0:1], null, s15, s2, v[2:3]
	s_mov_b32 s2, exec_lo
	s_delay_alu instid0(VALU_DEP_1)
	v_cmpx_gt_i32_e64 s3, v0
	s_cbranch_execz .LBB77_2
; %bb.1:
	s_clause 0x3
	s_load_b64 s[2:3], s[0:1], 0x30
	s_load_b256 s[4:11], s[0:1], 0x0
	s_load_b32 s12, s[0:1], 0x28
	s_load_b64 s[0:1], s[0:1], 0x20
	s_ashr_i32 s13, s14, 31
	s_waitcnt lgkmcnt(0)
	s_mul_i32 s3, s14, s3
	s_mul_hi_u32 s15, s14, s2
	s_mul_i32 s16, s13, s2
	s_add_i32 s3, s15, s3
	s_mul_i32 s2, s14, s2
	s_add_i32 s3, s3, s16
	s_mul_i32 s9, s14, s9
	s_lshl_b64 s[2:3], s[2:3], 4
	s_mul_hi_u32 s15, s14, s8
	s_add_u32 s2, s10, s2
	s_addc_u32 s3, s11, s3
	s_lshl_b64 s[0:1], s[0:1], 4
	s_mul_i32 s13, s13, s8
	s_add_u32 s2, s2, s0
	v_mad_u64_u32 v[4:5], null, v0, s12, v[0:1]
	v_ashrrev_i32_e32 v1, 31, v0
	s_addc_u32 s3, s3, s1
	s_add_i32 s1, s15, s9
	s_mul_i32 s0, s14, s8
	s_add_i32 s1, s1, s13
	v_lshlrev_b64 v[0:1], 4, v[0:1]
	s_lshl_b64 s[0:1], s[0:1], 4
	v_ashrrev_i32_e32 v5, 31, v4
	s_add_u32 s4, s4, s0
	s_addc_u32 s5, s5, s1
	s_lshl_b64 s[0:1], s[6:7], 4
	s_delay_alu instid0(SALU_CYCLE_1)
	s_add_u32 s0, s4, s0
	s_addc_u32 s1, s5, s1
	v_add_co_u32 v0, vcc_lo, s0, v0
	v_add_co_ci_u32_e32 v1, vcc_lo, s1, v1, vcc_lo
	v_lshlrev_b64 v[4:5], 4, v[4:5]
	global_load_b128 v[0:3], v[0:1], off
	v_add_co_u32 v4, vcc_lo, s2, v4
	v_add_co_ci_u32_e32 v5, vcc_lo, s3, v5, vcc_lo
	s_waitcnt vmcnt(0)
	global_store_b128 v[4:5], v[0:3], off
.LBB77_2:
	s_nop 0
	s_sendmsg sendmsg(MSG_DEALLOC_VGPRS)
	s_endpgm
	.section	.rodata,"a",@progbits
	.p2align	6, 0x0
	.amdhsa_kernel _ZN9rocsolver6v33100L12restore_diagI19rocblas_complex_numIdEiS3_PS3_EEvPT1_llT2_lT0_lS8_
		.amdhsa_group_segment_fixed_size 0
		.amdhsa_private_segment_fixed_size 0
		.amdhsa_kernarg_size 320
		.amdhsa_user_sgpr_count 14
		.amdhsa_user_sgpr_dispatch_ptr 0
		.amdhsa_user_sgpr_queue_ptr 0
		.amdhsa_user_sgpr_kernarg_segment_ptr 1
		.amdhsa_user_sgpr_dispatch_id 0
		.amdhsa_user_sgpr_private_segment_size 0
		.amdhsa_wavefront_size32 1
		.amdhsa_uses_dynamic_stack 0
		.amdhsa_enable_private_segment 0
		.amdhsa_system_sgpr_workgroup_id_x 1
		.amdhsa_system_sgpr_workgroup_id_y 1
		.amdhsa_system_sgpr_workgroup_id_z 0
		.amdhsa_system_sgpr_workgroup_info 0
		.amdhsa_system_vgpr_workitem_id 1
		.amdhsa_next_free_vgpr 6
		.amdhsa_next_free_sgpr 17
		.amdhsa_reserve_vcc 1
		.amdhsa_float_round_mode_32 0
		.amdhsa_float_round_mode_16_64 0
		.amdhsa_float_denorm_mode_32 3
		.amdhsa_float_denorm_mode_16_64 3
		.amdhsa_dx10_clamp 1
		.amdhsa_ieee_mode 1
		.amdhsa_fp16_overflow 0
		.amdhsa_workgroup_processor_mode 1
		.amdhsa_memory_ordered 1
		.amdhsa_forward_progress 0
		.amdhsa_shared_vgpr_count 0
		.amdhsa_exception_fp_ieee_invalid_op 0
		.amdhsa_exception_fp_denorm_src 0
		.amdhsa_exception_fp_ieee_div_zero 0
		.amdhsa_exception_fp_ieee_overflow 0
		.amdhsa_exception_fp_ieee_underflow 0
		.amdhsa_exception_fp_ieee_inexact 0
		.amdhsa_exception_int_div_zero 0
	.end_amdhsa_kernel
	.section	.text._ZN9rocsolver6v33100L12restore_diagI19rocblas_complex_numIdEiS3_PS3_EEvPT1_llT2_lT0_lS8_,"axG",@progbits,_ZN9rocsolver6v33100L12restore_diagI19rocblas_complex_numIdEiS3_PS3_EEvPT1_llT2_lT0_lS8_,comdat
.Lfunc_end77:
	.size	_ZN9rocsolver6v33100L12restore_diagI19rocblas_complex_numIdEiS3_PS3_EEvPT1_llT2_lT0_lS8_, .Lfunc_end77-_ZN9rocsolver6v33100L12restore_diagI19rocblas_complex_numIdEiS3_PS3_EEvPT1_llT2_lT0_lS8_
                                        ; -- End function
	.section	.AMDGPU.csdata,"",@progbits
; Kernel info:
; codeLenInByte = 300
; NumSgprs: 19
; NumVgprs: 6
; ScratchSize: 0
; MemoryBound: 0
; FloatMode: 240
; IeeeMode: 1
; LDSByteSize: 0 bytes/workgroup (compile time only)
; SGPRBlocks: 2
; VGPRBlocks: 0
; NumSGPRsForWavesPerEU: 19
; NumVGPRsForWavesPerEU: 6
; Occupancy: 16
; WaveLimiterHint : 0
; COMPUTE_PGM_RSRC2:SCRATCH_EN: 0
; COMPUTE_PGM_RSRC2:USER_SGPR: 14
; COMPUTE_PGM_RSRC2:TRAP_HANDLER: 0
; COMPUTE_PGM_RSRC2:TGID_X_EN: 1
; COMPUTE_PGM_RSRC2:TGID_Y_EN: 1
; COMPUTE_PGM_RSRC2:TGID_Z_EN: 0
; COMPUTE_PGM_RSRC2:TIDIG_COMP_CNT: 1
	.section	.text._ZN9rocsolver6v33100L17check_singularityI19rocblas_complex_numIdEPS3_EEviT0_iilPi,"axG",@progbits,_ZN9rocsolver6v33100L17check_singularityI19rocblas_complex_numIdEPS3_EEviT0_iilPi,comdat
	.globl	_ZN9rocsolver6v33100L17check_singularityI19rocblas_complex_numIdEPS3_EEviT0_iilPi ; -- Begin function _ZN9rocsolver6v33100L17check_singularityI19rocblas_complex_numIdEPS3_EEviT0_iilPi
	.p2align	8
	.type	_ZN9rocsolver6v33100L17check_singularityI19rocblas_complex_numIdEPS3_EEviT0_iilPi,@function
_ZN9rocsolver6v33100L17check_singularityI19rocblas_complex_numIdEPS3_EEviT0_iilPi: ; @_ZN9rocsolver6v33100L17check_singularityI19rocblas_complex_numIdEPS3_EEviT0_iilPi
; %bb.0:
	v_bfe_u32 v0, v0, 10, 10
	s_mov_b32 s8, s15
	s_delay_alu instid0(VALU_DEP_1)
	v_cmp_eq_u32_e32 vcc_lo, 0, v0
	s_and_saveexec_b32 s2, vcc_lo
	s_cbranch_execz .LBB78_2
; %bb.1:
	v_mov_b32_e32 v1, 0
	ds_store_b32 v1, v1
.LBB78_2:
	s_or_b32 exec_lo, exec_lo, s2
	s_clause 0x1
	s_load_b32 s3, s[0:1], 0x0
	s_load_b128 s[4:7], s[0:1], 0x18
	s_ashr_i32 s9, s8, 31
	s_mov_b32 s10, exec_lo
	s_waitcnt lgkmcnt(0)
	s_barrier
	buffer_gl0_inv
	v_cmpx_gt_i32_e64 s3, v0
	s_cbranch_execz .LBB78_9
; %bb.3:
	s_clause 0x1
	s_load_b128 s[12:15], s[0:1], 0x8
	s_load_b32 s11, s[0:1], 0x34
	s_mul_i32 s0, s8, s5
	s_mul_hi_u32 s1, s8, s4
	s_mul_i32 s2, s9, s4
	s_add_i32 s1, s1, s0
	s_mul_i32 s0, s8, s4
	s_add_i32 s1, s1, s2
	v_mov_b32_e32 v1, 0
	s_lshl_b64 s[0:1], s[0:1], 4
	s_waitcnt lgkmcnt(0)
	s_ashr_i32 s5, s14, 31
	s_mov_b32 s4, s14
	s_add_u32 s2, s12, s0
	s_addc_u32 s12, s13, s1
	s_lshl_b64 s[0:1], s[4:5], 4
	s_delay_alu instid0(SALU_CYCLE_1)
	s_add_u32 s2, s2, s0
	s_addc_u32 s4, s12, s1
	s_add_i32 s5, s15, 1
	s_lshr_b32 s11, s11, 16
	s_mov_b32 s12, 0
	s_branch .LBB78_5
.LBB78_4:                               ;   in Loop: Header=BB78_5 Depth=1
	s_or_b32 exec_lo, exec_lo, s13
	v_add_nc_u32_e32 v0, s11, v0
	s_delay_alu instid0(VALU_DEP_1) | instskip(NEXT) | instid1(VALU_DEP_1)
	v_cmp_le_i32_e64 s0, s3, v0
	s_or_b32 s12, s0, s12
	s_delay_alu instid0(SALU_CYCLE_1)
	s_and_not1_b32 exec_lo, exec_lo, s12
	s_cbranch_execz .LBB78_9
.LBB78_5:                               ; =>This Loop Header: Depth=1
                                        ;     Child Loop BB78_8 Depth 2
	v_mul_lo_u32 v2, v0, s5
	s_delay_alu instid0(VALU_DEP_1) | instskip(NEXT) | instid1(VALU_DEP_1)
	v_ashrrev_i32_e32 v3, 31, v2
	v_lshlrev_b64 v[2:3], 4, v[2:3]
	s_delay_alu instid0(VALU_DEP_1) | instskip(NEXT) | instid1(VALU_DEP_1)
	v_add_co_u32 v2, s0, s2, v2
	v_add_co_ci_u32_e64 v3, s0, s4, v3, s0
	global_load_b128 v[2:5], v[2:3], off
	s_waitcnt vmcnt(0)
	v_cmp_eq_f64_e64 s0, 0, v[2:3]
	v_cmp_eq_f64_e64 s1, 0, v[4:5]
	s_delay_alu instid0(VALU_DEP_1) | instskip(NEXT) | instid1(SALU_CYCLE_1)
	s_and_b32 s0, s0, s1
	s_and_saveexec_b32 s13, s0
	s_cbranch_execz .LBB78_4
; %bb.6:                                ;   in Loop: Header=BB78_5 Depth=1
	ds_load_b32 v2, v1
	s_waitcnt lgkmcnt(0)
	v_readfirstlane_b32 s1, v2
	v_add_nc_u32_e32 v2, 1, v0
	s_delay_alu instid0(VALU_DEP_2) | instskip(NEXT) | instid1(VALU_DEP_1)
	s_cmp_eq_u32 s1, 0
	v_cmp_gt_i32_e64 s0, s1, v2
	s_cselect_b32 s14, -1, 0
	s_delay_alu instid0(VALU_DEP_1) | instid1(SALU_CYCLE_1)
	s_or_b32 s0, s14, s0
	s_delay_alu instid0(SALU_CYCLE_1)
	s_and_b32 exec_lo, exec_lo, s0
	s_cbranch_execz .LBB78_4
; %bb.7:                                ;   in Loop: Header=BB78_5 Depth=1
	v_mov_b32_e32 v3, s1
	s_mov_b32 s14, 0
.LBB78_8:                               ;   Parent Loop BB78_5 Depth=1
                                        ; =>  This Inner Loop Header: Depth=2
	ds_cmpstore_rtn_b32 v3, v1, v2, v3
	s_waitcnt lgkmcnt(0)
	v_cmp_ne_u32_e64 s0, 0, v3
	v_cmp_le_i32_e64 s1, v3, v2
	s_delay_alu instid0(VALU_DEP_1) | instskip(NEXT) | instid1(SALU_CYCLE_1)
	s_and_b32 s0, s0, s1
	s_and_b32 s0, exec_lo, s0
	s_delay_alu instid0(SALU_CYCLE_1) | instskip(NEXT) | instid1(SALU_CYCLE_1)
	s_or_b32 s14, s0, s14
	s_and_not1_b32 exec_lo, exec_lo, s14
	s_cbranch_execnz .LBB78_8
	s_branch .LBB78_4
.LBB78_9:
	s_or_b32 exec_lo, exec_lo, s10
	s_barrier
	buffer_gl0_inv
	s_and_saveexec_b32 s0, vcc_lo
	s_cbranch_execz .LBB78_11
; %bb.10:
	v_mov_b32_e32 v0, 0
	s_lshl_b64 s[0:1], s[8:9], 2
	s_delay_alu instid0(SALU_CYCLE_1)
	s_add_u32 s0, s6, s0
	s_addc_u32 s1, s7, s1
	ds_load_b32 v1, v0
	s_waitcnt lgkmcnt(0)
	global_store_b32 v0, v1, s[0:1]
.LBB78_11:
	s_nop 0
	s_sendmsg sendmsg(MSG_DEALLOC_VGPRS)
	s_endpgm
	.section	.rodata,"a",@progbits
	.p2align	6, 0x0
	.amdhsa_kernel _ZN9rocsolver6v33100L17check_singularityI19rocblas_complex_numIdEPS3_EEviT0_iilPi
		.amdhsa_group_segment_fixed_size 4
		.amdhsa_private_segment_fixed_size 0
		.amdhsa_kernarg_size 296
		.amdhsa_user_sgpr_count 15
		.amdhsa_user_sgpr_dispatch_ptr 0
		.amdhsa_user_sgpr_queue_ptr 0
		.amdhsa_user_sgpr_kernarg_segment_ptr 1
		.amdhsa_user_sgpr_dispatch_id 0
		.amdhsa_user_sgpr_private_segment_size 0
		.amdhsa_wavefront_size32 1
		.amdhsa_uses_dynamic_stack 0
		.amdhsa_enable_private_segment 0
		.amdhsa_system_sgpr_workgroup_id_x 1
		.amdhsa_system_sgpr_workgroup_id_y 0
		.amdhsa_system_sgpr_workgroup_id_z 0
		.amdhsa_system_sgpr_workgroup_info 0
		.amdhsa_system_vgpr_workitem_id 1
		.amdhsa_next_free_vgpr 6
		.amdhsa_next_free_sgpr 16
		.amdhsa_reserve_vcc 1
		.amdhsa_float_round_mode_32 0
		.amdhsa_float_round_mode_16_64 0
		.amdhsa_float_denorm_mode_32 3
		.amdhsa_float_denorm_mode_16_64 3
		.amdhsa_dx10_clamp 1
		.amdhsa_ieee_mode 1
		.amdhsa_fp16_overflow 0
		.amdhsa_workgroup_processor_mode 1
		.amdhsa_memory_ordered 1
		.amdhsa_forward_progress 0
		.amdhsa_shared_vgpr_count 0
		.amdhsa_exception_fp_ieee_invalid_op 0
		.amdhsa_exception_fp_denorm_src 0
		.amdhsa_exception_fp_ieee_div_zero 0
		.amdhsa_exception_fp_ieee_overflow 0
		.amdhsa_exception_fp_ieee_underflow 0
		.amdhsa_exception_fp_ieee_inexact 0
		.amdhsa_exception_int_div_zero 0
	.end_amdhsa_kernel
	.section	.text._ZN9rocsolver6v33100L17check_singularityI19rocblas_complex_numIdEPS3_EEviT0_iilPi,"axG",@progbits,_ZN9rocsolver6v33100L17check_singularityI19rocblas_complex_numIdEPS3_EEviT0_iilPi,comdat
.Lfunc_end78:
	.size	_ZN9rocsolver6v33100L17check_singularityI19rocblas_complex_numIdEPS3_EEviT0_iilPi, .Lfunc_end78-_ZN9rocsolver6v33100L17check_singularityI19rocblas_complex_numIdEPS3_EEviT0_iilPi
                                        ; -- End function
	.section	.AMDGPU.csdata,"",@progbits
; Kernel info:
; codeLenInByte = 532
; NumSgprs: 18
; NumVgprs: 6
; ScratchSize: 0
; MemoryBound: 0
; FloatMode: 240
; IeeeMode: 1
; LDSByteSize: 4 bytes/workgroup (compile time only)
; SGPRBlocks: 2
; VGPRBlocks: 0
; NumSGPRsForWavesPerEU: 18
; NumVGPRsForWavesPerEU: 6
; Occupancy: 16
; WaveLimiterHint : 0
; COMPUTE_PGM_RSRC2:SCRATCH_EN: 0
; COMPUTE_PGM_RSRC2:USER_SGPR: 15
; COMPUTE_PGM_RSRC2:TRAP_HANDLER: 0
; COMPUTE_PGM_RSRC2:TGID_X_EN: 1
; COMPUTE_PGM_RSRC2:TGID_Y_EN: 0
; COMPUTE_PGM_RSRC2:TGID_Z_EN: 0
; COMPUTE_PGM_RSRC2:TIDIG_COMP_CNT: 1
	.section	.text._ZN9rocsolver6v33100L8copy_matI19rocblas_complex_numIdEPS3_NS0_9info_maskEEEvNS0_17copymat_directionEiiT0_iilPT_T1_13rocblas_fill_17rocblas_diagonal_,"axG",@progbits,_ZN9rocsolver6v33100L8copy_matI19rocblas_complex_numIdEPS3_NS0_9info_maskEEEvNS0_17copymat_directionEiiT0_iilPT_T1_13rocblas_fill_17rocblas_diagonal_,comdat
	.globl	_ZN9rocsolver6v33100L8copy_matI19rocblas_complex_numIdEPS3_NS0_9info_maskEEEvNS0_17copymat_directionEiiT0_iilPT_T1_13rocblas_fill_17rocblas_diagonal_ ; -- Begin function _ZN9rocsolver6v33100L8copy_matI19rocblas_complex_numIdEPS3_NS0_9info_maskEEEvNS0_17copymat_directionEiiT0_iilPT_T1_13rocblas_fill_17rocblas_diagonal_
	.p2align	8
	.type	_ZN9rocsolver6v33100L8copy_matI19rocblas_complex_numIdEPS3_NS0_9info_maskEEEvNS0_17copymat_directionEiiT0_iilPT_T1_13rocblas_fill_17rocblas_diagonal_,@function
_ZN9rocsolver6v33100L8copy_matI19rocblas_complex_numIdEPS3_NS0_9info_maskEEEvNS0_17copymat_directionEiiT0_iilPT_T1_13rocblas_fill_17rocblas_diagonal_: ; @_ZN9rocsolver6v33100L8copy_matI19rocblas_complex_numIdEPS3_NS0_9info_maskEEEvNS0_17copymat_directionEiiT0_iilPT_T1_13rocblas_fill_17rocblas_diagonal_
; %bb.0:
	s_clause 0x2
	s_load_b32 s6, s[0:1], 0x38
	s_load_b32 s7, s[0:1], 0x54
	s_load_b64 s[2:3], s[0:1], 0x30
	s_mov_b32 s16, s15
	s_ashr_i32 s17, s15, 31
	v_bfe_u32 v2, v0, 10, 10
	s_lshl_b64 s[4:5], s[16:17], 2
	v_and_b32_e32 v3, 0x3ff, v0
	s_waitcnt lgkmcnt(0)
	s_and_b32 s8, s6, 0xff
	s_lshr_b32 s9, s7, 16
	s_and_b32 s10, s7, 0xffff
	s_add_u32 s2, s2, s4
	s_addc_u32 s3, s3, s5
	s_load_b32 s2, s[2:3], 0x0
	s_load_b128 s[4:7], s[0:1], 0x0
	v_mad_u64_u32 v[0:1], null, s14, s9, v[2:3]
	v_mad_u64_u32 v[1:2], null, s13, s10, v[3:4]
	s_waitcnt lgkmcnt(0)
	s_cmp_lg_u32 s2, 0
	s_delay_alu instid0(VALU_DEP_1) | instskip(SKIP_1) | instid1(SALU_CYCLE_1)
	v_cmp_gt_u32_e32 vcc_lo, s5, v1
	s_cselect_b32 s2, -1, 0
	v_cndmask_b32_e64 v2, 0, 1, s2
	s_delay_alu instid0(VALU_DEP_4) | instskip(NEXT) | instid1(VALU_DEP_2)
	v_cmp_gt_u32_e64 s2, s6, v0
	v_readfirstlane_b32 s3, v2
	s_delay_alu instid0(VALU_DEP_1) | instskip(SKIP_1) | instid1(VALU_DEP_2)
	s_cmp_lg_u32 s8, s3
	s_cselect_b32 s3, -1, 0
	s_and_b32 s2, s2, vcc_lo
	s_delay_alu instid0(SALU_CYCLE_1) | instskip(NEXT) | instid1(SALU_CYCLE_1)
	s_and_b32 s2, s3, s2
	s_and_saveexec_b32 s3, s2
	s_cbranch_execz .LBB79_14
; %bb.1:
	s_clause 0x1
	s_load_b128 s[8:11], s[0:1], 0x20
	s_load_b64 s[12:13], s[0:1], 0x40
	s_waitcnt lgkmcnt(0)
	s_cmpk_lt_i32 s12, 0x7a
	s_cbranch_scc1 .LBB79_4
; %bb.2:
	s_cmpk_gt_i32 s12, 0x7a
	s_cbranch_scc0 .LBB79_5
; %bb.3:
	s_cmpk_lg_i32 s12, 0x7b
	s_mov_b32 s3, -1
	s_cselect_b32 s7, -1, 0
	s_cbranch_execz .LBB79_6
	s_branch .LBB79_7
.LBB79_4:
	s_mov_b32 s7, 0
	s_mov_b32 s3, 0
	s_cbranch_execnz .LBB79_8
	s_branch .LBB79_10
.LBB79_5:
	s_mov_b32 s3, 0
	s_mov_b32 s7, 0
.LBB79_6:
	v_cmp_gt_u32_e32 vcc_lo, v1, v0
	v_cmp_le_u32_e64 s2, v1, v0
	s_and_not1_b32 s3, s3, exec_lo
	s_and_not1_b32 s7, s7, exec_lo
	s_and_b32 s14, vcc_lo, exec_lo
	s_delay_alu instid0(VALU_DEP_1)
	s_and_b32 s2, s2, exec_lo
	s_or_b32 s3, s3, s14
	s_or_b32 s7, s7, s2
.LBB79_7:
	s_branch .LBB79_10
.LBB79_8:
	s_cmpk_eq_i32 s12, 0x79
	s_mov_b32 s7, -1
	s_cbranch_scc0 .LBB79_10
; %bb.9:
	v_cmp_gt_u32_e32 vcc_lo, v0, v1
	v_cmp_le_u32_e64 s2, v0, v1
	s_and_not1_b32 s3, s3, exec_lo
	s_and_b32 s7, vcc_lo, exec_lo
	s_delay_alu instid0(SALU_CYCLE_1) | instskip(NEXT) | instid1(VALU_DEP_1)
	s_or_b32 s3, s3, s7
	s_or_not1_b32 s7, s2, exec_lo
.LBB79_10:
	s_delay_alu instid0(SALU_CYCLE_1)
	s_and_saveexec_b32 s2, s7
; %bb.11:
	v_cmp_eq_u32_e32 vcc_lo, v1, v0
	s_cmpk_eq_i32 s13, 0x83
	s_cselect_b32 s7, -1, 0
	s_and_not1_b32 s3, s3, exec_lo
	s_and_b32 s7, s7, vcc_lo
	s_delay_alu instid0(SALU_CYCLE_1) | instskip(NEXT) | instid1(SALU_CYCLE_1)
	s_and_b32 s7, s7, exec_lo
	s_or_b32 s3, s3, s7
; %bb.12:
	s_or_b32 exec_lo, exec_lo, s2
	s_delay_alu instid0(SALU_CYCLE_1)
	s_and_b32 exec_lo, exec_lo, s3
	s_cbranch_execz .LBB79_14
; %bb.13:
	s_load_b128 s[0:3], s[0:1], 0x10
	s_mul_i32 s9, s16, s9
	s_mul_hi_u32 s13, s16, s8
	s_mul_i32 s8, s16, s8
	s_add_i32 s9, s13, s9
	s_ashr_i32 s7, s5, 31
	s_ashr_i32 s12, s6, 31
	s_mul_i32 s15, s5, s16
	s_lshl_b64 s[8:9], s[8:9], 4
	s_mul_hi_u32 s14, s5, s16
	s_mul_i32 s7, s7, s16
	s_mul_i32 s16, s15, s12
	s_waitcnt lgkmcnt(0)
	s_ashr_i32 s13, s2, 31
	s_mov_b32 s12, s2
	s_add_u32 s2, s0, s8
	s_addc_u32 s8, s1, s9
	s_lshl_b64 s[0:1], s[12:13], 4
	s_mul_hi_u32 s9, s15, s6
	s_add_u32 s2, s2, s0
	s_addc_u32 s8, s8, s1
	s_add_i32 s0, s14, s7
	s_add_i32 s1, s9, s16
	s_mul_i32 s7, s0, s6
	s_mul_i32 s0, s15, s6
	s_add_i32 s1, s1, s7
	s_delay_alu instid0(SALU_CYCLE_1) | instskip(NEXT) | instid1(SALU_CYCLE_1)
	s_lshl_b64 s[0:1], s[0:1], 4
	s_add_u32 s0, s10, s0
	s_addc_u32 s1, s11, s1
	s_cmp_eq_u32 s4, 0
	s_cselect_b32 s4, s3, s5
	s_cselect_b32 s6, s2, s0
	v_mad_u64_u32 v[5:6], null, v0, s4, v[1:2]
	v_mov_b32_e32 v6, 0
	s_cselect_b32 s4, s8, s1
	s_cselect_b32 s3, s5, s3
	;; [unrolled: 1-line block ×4, first 2 shown]
	s_delay_alu instid0(VALU_DEP_2) | instskip(NEXT) | instid1(VALU_DEP_1)
	v_lshlrev_b64 v[2:3], 4, v[5:6]
	v_add_co_u32 v2, vcc_lo, s6, v2
	s_delay_alu instid0(VALU_DEP_2) | instskip(SKIP_4) | instid1(VALU_DEP_1)
	v_add_co_ci_u32_e32 v3, vcc_lo, s4, v3, vcc_lo
	global_load_b128 v[2:5], v[2:3], off
	s_waitcnt vmcnt(0)
	v_mad_u64_u32 v[7:8], null, v0, s3, v[1:2]
	v_mov_b32_e32 v8, v6
	v_lshlrev_b64 v[0:1], 4, v[7:8]
	s_delay_alu instid0(VALU_DEP_1) | instskip(NEXT) | instid1(VALU_DEP_2)
	v_add_co_u32 v0, vcc_lo, s0, v0
	v_add_co_ci_u32_e32 v1, vcc_lo, s1, v1, vcc_lo
	global_store_b128 v[0:1], v[2:5], off
.LBB79_14:
	s_nop 0
	s_sendmsg sendmsg(MSG_DEALLOC_VGPRS)
	s_endpgm
	.section	.rodata,"a",@progbits
	.p2align	6, 0x0
	.amdhsa_kernel _ZN9rocsolver6v33100L8copy_matI19rocblas_complex_numIdEPS3_NS0_9info_maskEEEvNS0_17copymat_directionEiiT0_iilPT_T1_13rocblas_fill_17rocblas_diagonal_
		.amdhsa_group_segment_fixed_size 0
		.amdhsa_private_segment_fixed_size 0
		.amdhsa_kernarg_size 328
		.amdhsa_user_sgpr_count 13
		.amdhsa_user_sgpr_dispatch_ptr 0
		.amdhsa_user_sgpr_queue_ptr 0
		.amdhsa_user_sgpr_kernarg_segment_ptr 1
		.amdhsa_user_sgpr_dispatch_id 0
		.amdhsa_user_sgpr_private_segment_size 0
		.amdhsa_wavefront_size32 1
		.amdhsa_uses_dynamic_stack 0
		.amdhsa_enable_private_segment 0
		.amdhsa_system_sgpr_workgroup_id_x 1
		.amdhsa_system_sgpr_workgroup_id_y 1
		.amdhsa_system_sgpr_workgroup_id_z 1
		.amdhsa_system_sgpr_workgroup_info 0
		.amdhsa_system_vgpr_workitem_id 1
		.amdhsa_next_free_vgpr 9
		.amdhsa_next_free_sgpr 18
		.amdhsa_reserve_vcc 1
		.amdhsa_float_round_mode_32 0
		.amdhsa_float_round_mode_16_64 0
		.amdhsa_float_denorm_mode_32 3
		.amdhsa_float_denorm_mode_16_64 3
		.amdhsa_dx10_clamp 1
		.amdhsa_ieee_mode 1
		.amdhsa_fp16_overflow 0
		.amdhsa_workgroup_processor_mode 1
		.amdhsa_memory_ordered 1
		.amdhsa_forward_progress 0
		.amdhsa_shared_vgpr_count 0
		.amdhsa_exception_fp_ieee_invalid_op 0
		.amdhsa_exception_fp_denorm_src 0
		.amdhsa_exception_fp_ieee_div_zero 0
		.amdhsa_exception_fp_ieee_overflow 0
		.amdhsa_exception_fp_ieee_underflow 0
		.amdhsa_exception_fp_ieee_inexact 0
		.amdhsa_exception_int_div_zero 0
	.end_amdhsa_kernel
	.section	.text._ZN9rocsolver6v33100L8copy_matI19rocblas_complex_numIdEPS3_NS0_9info_maskEEEvNS0_17copymat_directionEiiT0_iilPT_T1_13rocblas_fill_17rocblas_diagonal_,"axG",@progbits,_ZN9rocsolver6v33100L8copy_matI19rocblas_complex_numIdEPS3_NS0_9info_maskEEEvNS0_17copymat_directionEiiT0_iilPT_T1_13rocblas_fill_17rocblas_diagonal_,comdat
.Lfunc_end79:
	.size	_ZN9rocsolver6v33100L8copy_matI19rocblas_complex_numIdEPS3_NS0_9info_maskEEEvNS0_17copymat_directionEiiT0_iilPT_T1_13rocblas_fill_17rocblas_diagonal_, .Lfunc_end79-_ZN9rocsolver6v33100L8copy_matI19rocblas_complex_numIdEPS3_NS0_9info_maskEEEvNS0_17copymat_directionEiiT0_iilPT_T1_13rocblas_fill_17rocblas_diagonal_
                                        ; -- End function
	.section	.AMDGPU.csdata,"",@progbits
; Kernel info:
; codeLenInByte = 684
; NumSgprs: 20
; NumVgprs: 9
; ScratchSize: 0
; MemoryBound: 0
; FloatMode: 240
; IeeeMode: 1
; LDSByteSize: 0 bytes/workgroup (compile time only)
; SGPRBlocks: 2
; VGPRBlocks: 1
; NumSGPRsForWavesPerEU: 20
; NumVGPRsForWavesPerEU: 9
; Occupancy: 16
; WaveLimiterHint : 0
; COMPUTE_PGM_RSRC2:SCRATCH_EN: 0
; COMPUTE_PGM_RSRC2:USER_SGPR: 13
; COMPUTE_PGM_RSRC2:TRAP_HANDLER: 0
; COMPUTE_PGM_RSRC2:TGID_X_EN: 1
; COMPUTE_PGM_RSRC2:TGID_Y_EN: 1
; COMPUTE_PGM_RSRC2:TGID_Z_EN: 1
; COMPUTE_PGM_RSRC2:TIDIG_COMP_CNT: 1
	.section	.text._ZN9rocsolver6v33100L13gels_set_zeroI19rocblas_complex_numIdEPS3_EEviiiT0_iilPKi,"axG",@progbits,_ZN9rocsolver6v33100L13gels_set_zeroI19rocblas_complex_numIdEPS3_EEviiiT0_iilPKi,comdat
	.globl	_ZN9rocsolver6v33100L13gels_set_zeroI19rocblas_complex_numIdEPS3_EEviiiT0_iilPKi ; -- Begin function _ZN9rocsolver6v33100L13gels_set_zeroI19rocblas_complex_numIdEPS3_EEviiiT0_iilPKi
	.p2align	8
	.type	_ZN9rocsolver6v33100L13gels_set_zeroI19rocblas_complex_numIdEPS3_EEviiiT0_iilPKi,@function
_ZN9rocsolver6v33100L13gels_set_zeroI19rocblas_complex_numIdEPS3_EEviiiT0_iilPKi: ; @_ZN9rocsolver6v33100L13gels_set_zeroI19rocblas_complex_numIdEPS3_EEviiiT0_iilPKi
; %bb.0:
	s_clause 0x1
	s_load_b32 s2, s[0:1], 0x3c
	s_load_b128 s[4:7], s[0:1], 0x0
	v_and_b32_e32 v2, 0x3ff, v0
	v_bfe_u32 v3, v0, 10, 10
	s_waitcnt lgkmcnt(0)
	s_lshr_b32 s3, s2, 16
	s_and_b32 s2, s2, 0xffff
	s_delay_alu instid0(VALU_DEP_1) | instid1(SALU_CYCLE_1)
	v_mad_u64_u32 v[0:1], null, s13, s2, v[2:3]
	v_mad_u64_u32 v[1:2], null, s14, s3, v[3:4]
	s_sub_i32 s2, s5, s4
	s_delay_alu instid0(VALU_DEP_2) | instid1(SALU_CYCLE_1)
	v_cmp_gt_u32_e32 vcc_lo, s2, v0
	s_delay_alu instid0(VALU_DEP_2) | instskip(NEXT) | instid1(VALU_DEP_1)
	v_cmp_gt_u32_e64 s2, s6, v1
	s_and_b32 s2, s2, vcc_lo
	s_delay_alu instid0(SALU_CYCLE_1)
	s_and_saveexec_b32 s3, s2
	s_cbranch_execz .LBB80_2
; %bb.1:
	s_load_b128 s[8:11], s[0:1], 0x20
	s_mov_b32 s12, s15
	s_mov_b32 s13, 0
	s_delay_alu instid0(SALU_CYCLE_1)
	s_lshl_b64 s[2:3], s[12:13], 2
	s_waitcnt lgkmcnt(0)
	s_add_u32 s2, s10, s2
	s_addc_u32 s3, s11, s3
	s_load_b32 s2, s[2:3], 0x0
	s_waitcnt lgkmcnt(0)
	s_cmp_lg_u32 s2, 0
	s_cbranch_scc0 .LBB80_3
.LBB80_2:
	s_endpgm
.LBB80_3:
	s_load_b128 s[0:3], s[0:1], 0x10
	s_mul_hi_u32 s5, s12, s8
	s_mul_i32 s6, s12, s8
	s_waitcnt lgkmcnt(0)
	v_mul_lo_u32 v2, v1, s3
	s_mul_i32 s3, s12, s9
	v_mov_b32_e32 v1, 0
	s_add_i32 s7, s5, s3
	s_ashr_i32 s3, s2, 31
	s_lshl_b64 s[6:7], s[6:7], 4
	s_delay_alu instid0(VALU_DEP_2)
	v_add3_u32 v0, v0, s4, v2
	s_add_u32 s4, s0, s6
	s_addc_u32 s5, s1, s7
	s_lshl_b64 s[0:1], s[2:3], 4
	v_mov_b32_e32 v2, v1
	v_lshlrev_b64 v[3:4], 4, v[0:1]
	s_add_u32 s0, s4, s0
	s_addc_u32 s1, s5, s1
	v_mov_b32_e32 v0, v1
	s_delay_alu instid0(VALU_DEP_2) | instskip(NEXT) | instid1(VALU_DEP_3)
	v_add_co_u32 v5, vcc_lo, s0, v3
	v_add_co_ci_u32_e32 v6, vcc_lo, s1, v4, vcc_lo
	v_mov_b32_e32 v3, v1
	global_store_b128 v[5:6], v[0:3], off
	s_nop 0
	s_sendmsg sendmsg(MSG_DEALLOC_VGPRS)
	s_endpgm
	.section	.rodata,"a",@progbits
	.p2align	6, 0x0
	.amdhsa_kernel _ZN9rocsolver6v33100L13gels_set_zeroI19rocblas_complex_numIdEPS3_EEviiiT0_iilPKi
		.amdhsa_group_segment_fixed_size 0
		.amdhsa_private_segment_fixed_size 0
		.amdhsa_kernarg_size 304
		.amdhsa_user_sgpr_count 13
		.amdhsa_user_sgpr_dispatch_ptr 0
		.amdhsa_user_sgpr_queue_ptr 0
		.amdhsa_user_sgpr_kernarg_segment_ptr 1
		.amdhsa_user_sgpr_dispatch_id 0
		.amdhsa_user_sgpr_private_segment_size 0
		.amdhsa_wavefront_size32 1
		.amdhsa_uses_dynamic_stack 0
		.amdhsa_enable_private_segment 0
		.amdhsa_system_sgpr_workgroup_id_x 1
		.amdhsa_system_sgpr_workgroup_id_y 1
		.amdhsa_system_sgpr_workgroup_id_z 1
		.amdhsa_system_sgpr_workgroup_info 0
		.amdhsa_system_vgpr_workitem_id 1
		.amdhsa_next_free_vgpr 7
		.amdhsa_next_free_sgpr 16
		.amdhsa_reserve_vcc 1
		.amdhsa_float_round_mode_32 0
		.amdhsa_float_round_mode_16_64 0
		.amdhsa_float_denorm_mode_32 3
		.amdhsa_float_denorm_mode_16_64 3
		.amdhsa_dx10_clamp 1
		.amdhsa_ieee_mode 1
		.amdhsa_fp16_overflow 0
		.amdhsa_workgroup_processor_mode 1
		.amdhsa_memory_ordered 1
		.amdhsa_forward_progress 0
		.amdhsa_shared_vgpr_count 0
		.amdhsa_exception_fp_ieee_invalid_op 0
		.amdhsa_exception_fp_denorm_src 0
		.amdhsa_exception_fp_ieee_div_zero 0
		.amdhsa_exception_fp_ieee_overflow 0
		.amdhsa_exception_fp_ieee_underflow 0
		.amdhsa_exception_fp_ieee_inexact 0
		.amdhsa_exception_int_div_zero 0
	.end_amdhsa_kernel
	.section	.text._ZN9rocsolver6v33100L13gels_set_zeroI19rocblas_complex_numIdEPS3_EEviiiT0_iilPKi,"axG",@progbits,_ZN9rocsolver6v33100L13gels_set_zeroI19rocblas_complex_numIdEPS3_EEviiiT0_iilPKi,comdat
.Lfunc_end80:
	.size	_ZN9rocsolver6v33100L13gels_set_zeroI19rocblas_complex_numIdEPS3_EEviiiT0_iilPKi, .Lfunc_end80-_ZN9rocsolver6v33100L13gels_set_zeroI19rocblas_complex_numIdEPS3_EEviiiT0_iilPKi
                                        ; -- End function
	.section	.AMDGPU.csdata,"",@progbits
; Kernel info:
; codeLenInByte = 308
; NumSgprs: 18
; NumVgprs: 7
; ScratchSize: 0
; MemoryBound: 0
; FloatMode: 240
; IeeeMode: 1
; LDSByteSize: 0 bytes/workgroup (compile time only)
; SGPRBlocks: 2
; VGPRBlocks: 0
; NumSGPRsForWavesPerEU: 18
; NumVGPRsForWavesPerEU: 7
; Occupancy: 16
; WaveLimiterHint : 0
; COMPUTE_PGM_RSRC2:SCRATCH_EN: 0
; COMPUTE_PGM_RSRC2:USER_SGPR: 13
; COMPUTE_PGM_RSRC2:TRAP_HANDLER: 0
; COMPUTE_PGM_RSRC2:TGID_X_EN: 1
; COMPUTE_PGM_RSRC2:TGID_Y_EN: 1
; COMPUTE_PGM_RSRC2:TGID_Z_EN: 1
; COMPUTE_PGM_RSRC2:TIDIG_COMP_CNT: 1
	.text
	.p2alignl 7, 3214868480
	.fill 96, 4, 3214868480
	.type	__hip_cuid_6f1e72607c56c035,@object ; @__hip_cuid_6f1e72607c56c035
	.section	.bss,"aw",@nobits
	.globl	__hip_cuid_6f1e72607c56c035
__hip_cuid_6f1e72607c56c035:
	.byte	0                               ; 0x0
	.size	__hip_cuid_6f1e72607c56c035, 1

	.ident	"AMD clang version 19.0.0git (https://github.com/RadeonOpenCompute/llvm-project roc-6.4.0 25133 c7fe45cf4b819c5991fe208aaa96edf142730f1d)"
	.section	".note.GNU-stack","",@progbits
	.addrsig
	.addrsig_sym __hip_cuid_6f1e72607c56c035
	.amdgpu_metadata
---
amdhsa.kernels:
  - .args:
      - .address_space:  global
        .offset:         0
        .size:           8
        .value_kind:     global_buffer
      - .offset:         8
        .size:           4
        .value_kind:     by_value
      - .offset:         12
        .size:           4
        .value_kind:     by_value
    .group_segment_fixed_size: 0
    .kernarg_segment_align: 8
    .kernarg_segment_size: 16
    .language:       OpenCL C
    .language_version:
      - 2
      - 0
    .max_flat_workgroup_size: 32
    .name:           _ZN9rocsolver6v33100L6iota_nIfEEvPT_jS2_
    .private_segment_fixed_size: 0
    .sgpr_count:     6
    .sgpr_spill_count: 0
    .symbol:         _ZN9rocsolver6v33100L6iota_nIfEEvPT_jS2_.kd
    .uniform_work_group_size: 1
    .uses_dynamic_stack: false
    .vgpr_count:     2
    .vgpr_spill_count: 0
    .wavefront_size: 32
    .workgroup_processor_mode: 1
  - .args:
      - .address_space:  global
        .offset:         0
        .size:           8
        .value_kind:     global_buffer
      - .offset:         8
        .size:           4
        .value_kind:     by_value
      - .offset:         12
        .size:           4
        .value_kind:     by_value
      - .offset:         16
        .size:           4
        .value_kind:     by_value
      - .offset:         24
        .size:           4
        .value_kind:     hidden_block_count_x
      - .offset:         28
        .size:           4
        .value_kind:     hidden_block_count_y
      - .offset:         32
        .size:           4
        .value_kind:     hidden_block_count_z
      - .offset:         36
        .size:           2
        .value_kind:     hidden_group_size_x
      - .offset:         38
        .size:           2
        .value_kind:     hidden_group_size_y
      - .offset:         40
        .size:           2
        .value_kind:     hidden_group_size_z
      - .offset:         42
        .size:           2
        .value_kind:     hidden_remainder_x
      - .offset:         44
        .size:           2
        .value_kind:     hidden_remainder_y
      - .offset:         46
        .size:           2
        .value_kind:     hidden_remainder_z
      - .offset:         64
        .size:           8
        .value_kind:     hidden_global_offset_x
      - .offset:         72
        .size:           8
        .value_kind:     hidden_global_offset_y
      - .offset:         80
        .size:           8
        .value_kind:     hidden_global_offset_z
      - .offset:         88
        .size:           2
        .value_kind:     hidden_grid_dims
    .group_segment_fixed_size: 0
    .kernarg_segment_align: 8
    .kernarg_segment_size: 280
    .language:       OpenCL C
    .language_version:
      - 2
      - 0
    .max_flat_workgroup_size: 1024
    .name:           _ZN9rocsolver6v33100L10reset_infoIiiiEEvPT_T0_T1_S4_
    .private_segment_fixed_size: 0
    .sgpr_count:     18
    .sgpr_spill_count: 0
    .symbol:         _ZN9rocsolver6v33100L10reset_infoIiiiEEvPT_T0_T1_S4_.kd
    .uniform_work_group_size: 1
    .uses_dynamic_stack: false
    .vgpr_count:     6
    .vgpr_spill_count: 0
    .wavefront_size: 32
    .workgroup_processor_mode: 1
  - .args:
      - .offset:         0
        .size:           4
        .value_kind:     by_value
      - .offset:         4
        .size:           4
        .value_kind:     by_value
      - .address_space:  global
        .offset:         8
        .size:           8
        .value_kind:     global_buffer
      - .offset:         16
        .size:           4
        .value_kind:     by_value
      - .offset:         20
        .size:           4
        .value_kind:     by_value
      - .offset:         24
        .size:           8
        .value_kind:     by_value
      - .offset:         32
        .size:           4
        .value_kind:     by_value
      - .offset:         40
        .size:           4
        .value_kind:     hidden_block_count_x
      - .offset:         44
        .size:           4
        .value_kind:     hidden_block_count_y
      - .offset:         48
        .size:           4
        .value_kind:     hidden_block_count_z
      - .offset:         52
        .size:           2
        .value_kind:     hidden_group_size_x
      - .offset:         54
        .size:           2
        .value_kind:     hidden_group_size_y
      - .offset:         56
        .size:           2
        .value_kind:     hidden_group_size_z
      - .offset:         58
        .size:           2
        .value_kind:     hidden_remainder_x
      - .offset:         60
        .size:           2
        .value_kind:     hidden_remainder_y
      - .offset:         62
        .size:           2
        .value_kind:     hidden_remainder_z
      - .offset:         80
        .size:           8
        .value_kind:     hidden_global_offset_x
      - .offset:         88
        .size:           8
        .value_kind:     hidden_global_offset_y
      - .offset:         96
        .size:           8
        .value_kind:     hidden_global_offset_z
      - .offset:         104
        .size:           2
        .value_kind:     hidden_grid_dims
    .group_segment_fixed_size: 0
    .kernarg_segment_align: 8
    .kernarg_segment_size: 296
    .language:       OpenCL C
    .language_version:
      - 2
      - 0
    .max_flat_workgroup_size: 1024
    .name:           _ZN9rocsolver6v33100L8set_zeroIfPfEEviiT0_iil13rocblas_fill_
    .private_segment_fixed_size: 0
    .sgpr_count:     18
    .sgpr_spill_count: 0
    .symbol:         _ZN9rocsolver6v33100L8set_zeroIfPfEEviiT0_iil13rocblas_fill_.kd
    .uniform_work_group_size: 1
    .uses_dynamic_stack: false
    .vgpr_count:     5
    .vgpr_spill_count: 0
    .wavefront_size: 32
    .workgroup_processor_mode: 1
  - .args:
      - .offset:         0
        .size:           4
        .value_kind:     by_value
      - .offset:         4
        .size:           4
        .value_kind:     by_value
      - .address_space:  global
        .offset:         8
        .size:           8
        .value_kind:     global_buffer
      - .offset:         16
        .size:           8
        .value_kind:     by_value
      - .offset:         24
        .size:           4
        .value_kind:     by_value
      - .offset:         32
        .size:           8
        .value_kind:     by_value
      - .address_space:  global
        .offset:         40
        .size:           8
        .value_kind:     global_buffer
      - .offset:         48
        .size:           8
        .value_kind:     by_value
      - .address_space:  global
        .offset:         56
        .size:           8
        .value_kind:     global_buffer
      - .offset:         64
        .size:           8
        .value_kind:     by_value
    .group_segment_fixed_size: 0
    .kernarg_segment_align: 8
    .kernarg_segment_size: 72
    .language:       OpenCL C
    .language_version:
      - 2
      - 0
    .max_flat_workgroup_size: 256
    .name:           _ZN9rocsolver6v33100L18geqr2_kernel_smallILi256EfifPfEEvT1_S3_T3_lS3_lPT2_lPT0_l
    .private_segment_fixed_size: 0
    .sgpr_count:     38
    .sgpr_spill_count: 0
    .symbol:         _ZN9rocsolver6v33100L18geqr2_kernel_smallILi256EfifPfEEvT1_S3_T3_lS3_lPT2_lPT0_l.kd
    .uniform_work_group_size: 1
    .uses_dynamic_stack: false
    .vgpr_count:     27
    .vgpr_spill_count: 0
    .wavefront_size: 32
    .workgroup_processor_mode: 1
  - .args:
      - .address_space:  global
        .offset:         0
        .size:           8
        .value_kind:     global_buffer
      - .offset:         8
        .size:           8
        .value_kind:     by_value
      - .offset:         16
        .size:           4
        .value_kind:     by_value
      - .offset:         20
        .size:           4
        .value_kind:     by_value
      - .offset:         24
        .size:           4
        .value_kind:     hidden_block_count_x
      - .offset:         28
        .size:           4
        .value_kind:     hidden_block_count_y
      - .offset:         32
        .size:           4
        .value_kind:     hidden_block_count_z
      - .offset:         36
        .size:           2
        .value_kind:     hidden_group_size_x
      - .offset:         38
        .size:           2
        .value_kind:     hidden_group_size_y
      - .offset:         40
        .size:           2
        .value_kind:     hidden_group_size_z
      - .offset:         42
        .size:           2
        .value_kind:     hidden_remainder_x
      - .offset:         44
        .size:           2
        .value_kind:     hidden_remainder_y
      - .offset:         46
        .size:           2
        .value_kind:     hidden_remainder_z
      - .offset:         64
        .size:           8
        .value_kind:     hidden_global_offset_x
      - .offset:         72
        .size:           8
        .value_kind:     hidden_global_offset_y
      - .offset:         80
        .size:           8
        .value_kind:     hidden_global_offset_z
      - .offset:         88
        .size:           2
        .value_kind:     hidden_grid_dims
    .group_segment_fixed_size: 0
    .kernarg_segment_align: 8
    .kernarg_segment_size: 280
    .language:       OpenCL C
    .language_version:
      - 2
      - 0
    .max_flat_workgroup_size: 1024
    .name:           _ZN9rocsolver6v33100L16reset_batch_infoIfiiPfEEvT2_lT0_T1_
    .private_segment_fixed_size: 0
    .sgpr_count:     18
    .sgpr_spill_count: 0
    .symbol:         _ZN9rocsolver6v33100L16reset_batch_infoIfiiPfEEvT2_lT0_T1_.kd
    .uniform_work_group_size: 1
    .uses_dynamic_stack: false
    .vgpr_count:     3
    .vgpr_spill_count: 0
    .wavefront_size: 32
    .workgroup_processor_mode: 1
  - .args:
      - .address_space:  global
        .offset:         0
        .size:           8
        .value_kind:     global_buffer
      - .offset:         8
        .size:           8
        .value_kind:     by_value
      - .offset:         16
        .size:           8
        .value_kind:     by_value
      - .address_space:  global
        .offset:         24
        .size:           8
        .value_kind:     global_buffer
      - .offset:         32
        .size:           8
        .value_kind:     by_value
      - .offset:         40
        .size:           4
        .value_kind:     by_value
      - .offset:         48
        .size:           8
        .value_kind:     by_value
      - .offset:         56
        .size:           4
        .value_kind:     by_value
      - .offset:         60
        .size:           1
        .value_kind:     by_value
      - .offset:         64
        .size:           4
        .value_kind:     hidden_block_count_x
      - .offset:         68
        .size:           4
        .value_kind:     hidden_block_count_y
      - .offset:         72
        .size:           4
        .value_kind:     hidden_block_count_z
      - .offset:         76
        .size:           2
        .value_kind:     hidden_group_size_x
      - .offset:         78
        .size:           2
        .value_kind:     hidden_group_size_y
      - .offset:         80
        .size:           2
        .value_kind:     hidden_group_size_z
      - .offset:         82
        .size:           2
        .value_kind:     hidden_remainder_x
      - .offset:         84
        .size:           2
        .value_kind:     hidden_remainder_y
      - .offset:         86
        .size:           2
        .value_kind:     hidden_remainder_z
      - .offset:         104
        .size:           8
        .value_kind:     hidden_global_offset_x
      - .offset:         112
        .size:           8
        .value_kind:     hidden_global_offset_y
      - .offset:         120
        .size:           8
        .value_kind:     hidden_global_offset_z
      - .offset:         128
        .size:           2
        .value_kind:     hidden_grid_dims
    .group_segment_fixed_size: 0
    .kernarg_segment_align: 8
    .kernarg_segment_size: 320
    .language:       OpenCL C
    .language_version:
      - 2
      - 0
    .max_flat_workgroup_size: 1024
    .name:           _ZN9rocsolver6v33100L8set_diagIfifPfTnNSt9enable_ifIXoont18rocblas_is_complexIT_E18rocblas_is_complexIT1_EEiE4typeELi0EEEvPS5_llT2_lT0_lSA_b
    .private_segment_fixed_size: 0
    .sgpr_count:     19
    .sgpr_spill_count: 0
    .symbol:         _ZN9rocsolver6v33100L8set_diagIfifPfTnNSt9enable_ifIXoont18rocblas_is_complexIT_E18rocblas_is_complexIT1_EEiE4typeELi0EEEvPS5_llT2_lT0_lSA_b.kd
    .uniform_work_group_size: 1
    .uses_dynamic_stack: false
    .vgpr_count:     6
    .vgpr_spill_count: 0
    .wavefront_size: 32
    .workgroup_processor_mode: 1
  - .args:
      - .address_space:  global
        .offset:         0
        .size:           8
        .value_kind:     global_buffer
      - .offset:         8
        .size:           8
        .value_kind:     by_value
      - .address_space:  global
        .offset:         16
        .size:           8
        .value_kind:     global_buffer
      - .address_space:  global
        .offset:         24
        .size:           8
        .value_kind:     global_buffer
      - .offset:         32
        .size:           8
        .value_kind:     by_value
      - .offset:         40
        .size:           8
        .value_kind:     by_value
      - .address_space:  global
        .offset:         48
        .size:           8
        .value_kind:     global_buffer
      - .offset:         56
        .size:           8
        .value_kind:     by_value
      - .offset:         64
        .size:           8
        .value_kind:     by_value
    .group_segment_fixed_size: 0
    .kernarg_segment_align: 8
    .kernarg_segment_size: 72
    .language:       OpenCL C
    .language_version:
      - 2
      - 0
    .max_flat_workgroup_size: 1024
    .name:           _ZN9rocsolver6v33100L11set_taubetaIfifPfEEvPT_lS4_T2_llPT1_ll
    .private_segment_fixed_size: 0
    .sgpr_count:     24
    .sgpr_spill_count: 0
    .symbol:         _ZN9rocsolver6v33100L11set_taubetaIfifPfEEvPT_lS4_T2_llPT1_ll.kd
    .uniform_work_group_size: 1
    .uses_dynamic_stack: false
    .vgpr_count:     8
    .vgpr_spill_count: 0
    .wavefront_size: 32
    .workgroup_processor_mode: 1
  - .args:
      - .offset:         0
        .size:           4
        .value_kind:     by_value
      - .offset:         4
        .size:           4
        .value_kind:     by_value
      - .address_space:  global
        .offset:         8
        .size:           8
        .value_kind:     global_buffer
      - .offset:         16
        .size:           8
        .value_kind:     by_value
      - .offset:         24
        .size:           4
        .value_kind:     by_value
      - .offset:         32
        .size:           8
        .value_kind:     by_value
    .group_segment_fixed_size: 0
    .kernarg_segment_align: 8
    .kernarg_segment_size: 40
    .language:       OpenCL C
    .language_version:
      - 2
      - 0
    .max_flat_workgroup_size: 1024
    .name:           _ZN9rocsolver6v33100L13conj_in_placeIfiPfTnNSt9enable_ifIXnt18rocblas_is_complexIT_EEiE4typeELi0EEEvT0_S7_T1_lS7_l
    .private_segment_fixed_size: 0
    .sgpr_count:     0
    .sgpr_spill_count: 0
    .symbol:         _ZN9rocsolver6v33100L13conj_in_placeIfiPfTnNSt9enable_ifIXnt18rocblas_is_complexIT_EEiE4typeELi0EEEvT0_S7_T1_lS7_l.kd
    .uniform_work_group_size: 1
    .uses_dynamic_stack: false
    .vgpr_count:     0
    .vgpr_spill_count: 0
    .wavefront_size: 32
    .workgroup_processor_mode: 1
  - .args:
      - .offset:         0
        .size:           4
        .value_kind:     by_value
      - .offset:         4
        .size:           4
        .value_kind:     by_value
      - .address_space:  global
        .offset:         8
        .size:           8
        .value_kind:     global_buffer
      - .offset:         16
        .size:           8
        .value_kind:     by_value
      - .offset:         24
        .size:           4
        .value_kind:     by_value
      - .offset:         32
        .size:           8
        .value_kind:     by_value
      - .address_space:  global
        .offset:         40
        .size:           8
        .value_kind:     global_buffer
      - .offset:         48
        .size:           8
        .value_kind:     by_value
      - .address_space:  global
        .offset:         56
        .size:           8
        .value_kind:     global_buffer
      - .offset:         64
        .size:           8
        .value_kind:     by_value
      - .offset:         72
        .size:           4
        .value_kind:     by_value
      - .offset:         80
        .size:           8
        .value_kind:     by_value
    .group_segment_fixed_size: 0
    .kernarg_segment_align: 8
    .kernarg_segment_size: 88
    .language:       OpenCL C
    .language_version:
      - 2
      - 0
    .max_flat_workgroup_size: 1024
    .name:           _ZN9rocsolver6v33100L16larf_left_kernelILi1024EfiPfEEvT1_S3_T2_lS3_lPKT0_lS4_lS3_l
    .private_segment_fixed_size: 0
    .sgpr_count:     32
    .sgpr_spill_count: 0
    .symbol:         _ZN9rocsolver6v33100L16larf_left_kernelILi1024EfiPfEEvT1_S3_T2_lS3_lPKT0_lS4_lS3_l.kd
    .uniform_work_group_size: 1
    .uses_dynamic_stack: false
    .vgpr_count:     13
    .vgpr_spill_count: 0
    .wavefront_size: 32
    .workgroup_processor_mode: 1
  - .args:
      - .offset:         0
        .size:           4
        .value_kind:     by_value
      - .offset:         4
        .size:           4
        .value_kind:     by_value
      - .address_space:  global
        .offset:         8
        .size:           8
        .value_kind:     global_buffer
      - .offset:         16
        .size:           8
        .value_kind:     by_value
      - .offset:         24
        .size:           4
        .value_kind:     by_value
      - .offset:         32
        .size:           8
        .value_kind:     by_value
      - .address_space:  global
        .offset:         40
        .size:           8
        .value_kind:     global_buffer
      - .offset:         48
        .size:           8
        .value_kind:     by_value
      - .address_space:  global
        .offset:         56
        .size:           8
        .value_kind:     global_buffer
      - .offset:         64
        .size:           8
        .value_kind:     by_value
      - .offset:         72
        .size:           4
        .value_kind:     by_value
      - .offset:         80
        .size:           8
        .value_kind:     by_value
    .group_segment_fixed_size: 0
    .kernarg_segment_align: 8
    .kernarg_segment_size: 88
    .language:       OpenCL C
    .language_version:
      - 2
      - 0
    .max_flat_workgroup_size: 1024
    .name:           _ZN9rocsolver6v33100L17larf_right_kernelILi1024EfiPfEEvT1_S3_T2_lS3_lPKT0_lS4_lS3_l
    .private_segment_fixed_size: 0
    .sgpr_count:     36
    .sgpr_spill_count: 0
    .symbol:         _ZN9rocsolver6v33100L17larf_right_kernelILi1024EfiPfEEvT1_S3_T2_lS3_lPKT0_lS4_lS3_l.kd
    .uniform_work_group_size: 1
    .uses_dynamic_stack: false
    .vgpr_count:     13
    .vgpr_spill_count: 0
    .wavefront_size: 32
    .workgroup_processor_mode: 1
  - .args:
      - .address_space:  global
        .offset:         0
        .size:           8
        .value_kind:     global_buffer
      - .offset:         8
        .size:           8
        .value_kind:     by_value
      - .offset:         16
        .size:           8
        .value_kind:     by_value
      - .address_space:  global
        .offset:         24
        .size:           8
        .value_kind:     global_buffer
      - .offset:         32
        .size:           8
        .value_kind:     by_value
      - .offset:         40
        .size:           4
        .value_kind:     by_value
      - .offset:         48
        .size:           8
        .value_kind:     by_value
      - .offset:         56
        .size:           4
        .value_kind:     by_value
      - .offset:         64
        .size:           4
        .value_kind:     hidden_block_count_x
      - .offset:         68
        .size:           4
        .value_kind:     hidden_block_count_y
      - .offset:         72
        .size:           4
        .value_kind:     hidden_block_count_z
      - .offset:         76
        .size:           2
        .value_kind:     hidden_group_size_x
      - .offset:         78
        .size:           2
        .value_kind:     hidden_group_size_y
      - .offset:         80
        .size:           2
        .value_kind:     hidden_group_size_z
      - .offset:         82
        .size:           2
        .value_kind:     hidden_remainder_x
      - .offset:         84
        .size:           2
        .value_kind:     hidden_remainder_y
      - .offset:         86
        .size:           2
        .value_kind:     hidden_remainder_z
      - .offset:         104
        .size:           8
        .value_kind:     hidden_global_offset_x
      - .offset:         112
        .size:           8
        .value_kind:     hidden_global_offset_y
      - .offset:         120
        .size:           8
        .value_kind:     hidden_global_offset_z
      - .offset:         128
        .size:           2
        .value_kind:     hidden_grid_dims
    .group_segment_fixed_size: 0
    .kernarg_segment_align: 8
    .kernarg_segment_size: 320
    .language:       OpenCL C
    .language_version:
      - 2
      - 0
    .max_flat_workgroup_size: 1024
    .name:           _ZN9rocsolver6v33100L12restore_diagIfifPfEEvPT1_llT2_lT0_lS6_
    .private_segment_fixed_size: 0
    .sgpr_count:     19
    .sgpr_spill_count: 0
    .symbol:         _ZN9rocsolver6v33100L12restore_diagIfifPfEEvPT1_llT2_lT0_lS6_.kd
    .uniform_work_group_size: 1
    .uses_dynamic_stack: false
    .vgpr_count:     5
    .vgpr_spill_count: 0
    .wavefront_size: 32
    .workgroup_processor_mode: 1
  - .args:
      - .offset:         0
        .size:           4
        .value_kind:     by_value
      - .offset:         4
        .size:           4
        .value_kind:     by_value
      - .address_space:  global
        .offset:         8
        .size:           8
        .value_kind:     global_buffer
      - .offset:         16
        .size:           4
        .value_kind:     by_value
      - .offset:         20
        .size:           4
        .value_kind:     by_value
      - .offset:         24
        .size:           8
        .value_kind:     by_value
      - .address_space:  global
        .offset:         32
        .size:           8
        .value_kind:     global_buffer
      - .offset:         40
        .size:           8
        .value_kind:     by_value
      - .address_space:  global
        .offset:         48
        .size:           8
        .value_kind:     global_buffer
      - .offset:         56
        .size:           4
        .value_kind:     by_value
      - .offset:         64
        .size:           8
        .value_kind:     by_value
      - .offset:         72
        .size:           4
        .value_kind:     by_value
      - .offset:         76
        .size:           4
        .value_kind:     by_value
      - .offset:         80
        .size:           1
        .value_kind:     by_value
      - .offset:         88
        .size:           4
        .value_kind:     hidden_block_count_x
      - .offset:         92
        .size:           4
        .value_kind:     hidden_block_count_y
      - .offset:         96
        .size:           4
        .value_kind:     hidden_block_count_z
      - .offset:         100
        .size:           2
        .value_kind:     hidden_group_size_x
      - .offset:         102
        .size:           2
        .value_kind:     hidden_group_size_y
      - .offset:         104
        .size:           2
        .value_kind:     hidden_group_size_z
      - .offset:         106
        .size:           2
        .value_kind:     hidden_remainder_x
      - .offset:         108
        .size:           2
        .value_kind:     hidden_remainder_y
      - .offset:         110
        .size:           2
        .value_kind:     hidden_remainder_z
      - .offset:         128
        .size:           8
        .value_kind:     hidden_global_offset_x
      - .offset:         136
        .size:           8
        .value_kind:     hidden_global_offset_y
      - .offset:         144
        .size:           8
        .value_kind:     hidden_global_offset_z
      - .offset:         152
        .size:           2
        .value_kind:     hidden_grid_dims
    .group_segment_fixed_size: 0
    .kernarg_segment_align: 8
    .kernarg_segment_size: 344
    .language:       OpenCL C
    .language_version:
      - 2
      - 0
    .max_flat_workgroup_size: 1024
    .name:           _ZN9rocsolver6v33100L14set_triangularIfPfTnNSt9enable_ifIXnt18rocblas_is_complexIT_EEiE4typeELi0EEEviiT0_iilPS4_lS8_il15rocblas_direct_15rocblas_storev_b
    .private_segment_fixed_size: 0
    .sgpr_count:     24
    .sgpr_spill_count: 0
    .symbol:         _ZN9rocsolver6v33100L14set_triangularIfPfTnNSt9enable_ifIXnt18rocblas_is_complexIT_EEiE4typeELi0EEEviiT0_iilPS4_lS8_il15rocblas_direct_15rocblas_storev_b.kd
    .uniform_work_group_size: 1
    .uses_dynamic_stack: false
    .vgpr_count:     14
    .vgpr_spill_count: 0
    .wavefront_size: 32
    .workgroup_processor_mode: 1
  - .args:
      - .offset:         0
        .size:           4
        .value_kind:     by_value
      - .address_space:  global
        .offset:         8
        .size:           8
        .value_kind:     global_buffer
      - .offset:         16
        .size:           8
        .value_kind:     by_value
      - .offset:         24
        .size:           4
        .value_kind:     hidden_block_count_x
      - .offset:         28
        .size:           4
        .value_kind:     hidden_block_count_y
      - .offset:         32
        .size:           4
        .value_kind:     hidden_block_count_z
      - .offset:         36
        .size:           2
        .value_kind:     hidden_group_size_x
      - .offset:         38
        .size:           2
        .value_kind:     hidden_group_size_y
      - .offset:         40
        .size:           2
        .value_kind:     hidden_group_size_z
      - .offset:         42
        .size:           2
        .value_kind:     hidden_remainder_x
      - .offset:         44
        .size:           2
        .value_kind:     hidden_remainder_y
      - .offset:         46
        .size:           2
        .value_kind:     hidden_remainder_z
      - .offset:         64
        .size:           8
        .value_kind:     hidden_global_offset_x
      - .offset:         72
        .size:           8
        .value_kind:     hidden_global_offset_y
      - .offset:         80
        .size:           8
        .value_kind:     hidden_global_offset_z
      - .offset:         88
        .size:           2
        .value_kind:     hidden_grid_dims
    .group_segment_fixed_size: 0
    .kernarg_segment_align: 8
    .kernarg_segment_size: 280
    .language:       OpenCL C
    .language_version:
      - 2
      - 0
    .max_flat_workgroup_size: 1024
    .name:           _ZN9rocsolver6v33100L7set_tauIfEEviPT_l
    .private_segment_fixed_size: 0
    .sgpr_count:     18
    .sgpr_spill_count: 0
    .symbol:         _ZN9rocsolver6v33100L7set_tauIfEEviPT_l.kd
    .uniform_work_group_size: 1
    .uses_dynamic_stack: false
    .vgpr_count:     3
    .vgpr_spill_count: 0
    .wavefront_size: 32
    .workgroup_processor_mode: 1
  - .args:
      - .offset:         0
        .size:           4
        .value_kind:     by_value
      - .offset:         4
        .size:           4
        .value_kind:     by_value
      - .offset:         8
        .size:           4
        .value_kind:     by_value
      - .address_space:  global
        .offset:         16
        .size:           8
        .value_kind:     global_buffer
      - .offset:         24
        .size:           4
        .value_kind:     by_value
      - .offset:         28
        .size:           4
        .value_kind:     by_value
      - .offset:         32
        .size:           8
        .value_kind:     by_value
      - .address_space:  global
        .offset:         40
        .size:           8
        .value_kind:     global_buffer
      - .offset:         48
        .size:           8
        .value_kind:     by_value
      - .address_space:  global
        .offset:         56
        .size:           8
        .value_kind:     global_buffer
      - .offset:         64
        .size:           4
        .value_kind:     by_value
      - .offset:         72
        .size:           8
        .value_kind:     by_value
      - .offset:         80
        .size:           4
        .value_kind:     hidden_block_count_x
      - .offset:         84
        .size:           4
        .value_kind:     hidden_block_count_y
      - .offset:         88
        .size:           4
        .value_kind:     hidden_block_count_z
      - .offset:         92
        .size:           2
        .value_kind:     hidden_group_size_x
      - .offset:         94
        .size:           2
        .value_kind:     hidden_group_size_y
      - .offset:         96
        .size:           2
        .value_kind:     hidden_group_size_z
      - .offset:         98
        .size:           2
        .value_kind:     hidden_remainder_x
      - .offset:         100
        .size:           2
        .value_kind:     hidden_remainder_y
      - .offset:         102
        .size:           2
        .value_kind:     hidden_remainder_z
      - .offset:         120
        .size:           8
        .value_kind:     hidden_global_offset_x
      - .offset:         128
        .size:           8
        .value_kind:     hidden_global_offset_y
      - .offset:         136
        .size:           8
        .value_kind:     hidden_global_offset_z
      - .offset:         144
        .size:           2
        .value_kind:     hidden_grid_dims
      - .offset:         200
        .size:           4
        .value_kind:     hidden_dynamic_lds_size
    .group_segment_fixed_size: 0
    .kernarg_segment_align: 8
    .kernarg_segment_size: 336
    .language:       OpenCL C
    .language_version:
      - 2
      - 0
    .max_flat_workgroup_size: 1024
    .name:           _ZN9rocsolver6v33100L20larft_kernel_forwardIfPfEEv15rocblas_storev_iiT0_iilPT_lS6_il
    .private_segment_fixed_size: 0
    .sgpr_count:     44
    .sgpr_spill_count: 0
    .symbol:         _ZN9rocsolver6v33100L20larft_kernel_forwardIfPfEEv15rocblas_storev_iiT0_iilPT_lS6_il.kd
    .uniform_work_group_size: 1
    .uses_dynamic_stack: false
    .vgpr_count:     16
    .vgpr_spill_count: 0
    .wavefront_size: 32
    .workgroup_processor_mode: 1
  - .args:
      - .offset:         0
        .size:           4
        .value_kind:     by_value
      - .offset:         4
        .size:           4
        .value_kind:     by_value
      - .offset:         8
        .size:           4
        .value_kind:     by_value
      - .address_space:  global
        .offset:         16
        .size:           8
        .value_kind:     global_buffer
      - .offset:         24
        .size:           4
        .value_kind:     by_value
      - .offset:         28
        .size:           4
        .value_kind:     by_value
      - .offset:         32
        .size:           8
        .value_kind:     by_value
      - .address_space:  global
        .offset:         40
        .size:           8
        .value_kind:     global_buffer
      - .offset:         48
        .size:           8
        .value_kind:     by_value
      - .address_space:  global
        .offset:         56
        .size:           8
        .value_kind:     global_buffer
      - .offset:         64
        .size:           4
        .value_kind:     by_value
      - .offset:         72
        .size:           8
        .value_kind:     by_value
      - .offset:         80
        .size:           4
        .value_kind:     hidden_block_count_x
      - .offset:         84
        .size:           4
        .value_kind:     hidden_block_count_y
      - .offset:         88
        .size:           4
        .value_kind:     hidden_block_count_z
      - .offset:         92
        .size:           2
        .value_kind:     hidden_group_size_x
      - .offset:         94
        .size:           2
        .value_kind:     hidden_group_size_y
      - .offset:         96
        .size:           2
        .value_kind:     hidden_group_size_z
      - .offset:         98
        .size:           2
        .value_kind:     hidden_remainder_x
      - .offset:         100
        .size:           2
        .value_kind:     hidden_remainder_y
      - .offset:         102
        .size:           2
        .value_kind:     hidden_remainder_z
      - .offset:         120
        .size:           8
        .value_kind:     hidden_global_offset_x
      - .offset:         128
        .size:           8
        .value_kind:     hidden_global_offset_y
      - .offset:         136
        .size:           8
        .value_kind:     hidden_global_offset_z
      - .offset:         144
        .size:           2
        .value_kind:     hidden_grid_dims
      - .offset:         200
        .size:           4
        .value_kind:     hidden_dynamic_lds_size
    .group_segment_fixed_size: 0
    .kernarg_segment_align: 8
    .kernarg_segment_size: 336
    .language:       OpenCL C
    .language_version:
      - 2
      - 0
    .max_flat_workgroup_size: 1024
    .name:           _ZN9rocsolver6v33100L21larft_kernel_backwardIfPfEEv15rocblas_storev_iiT0_iilPT_lS6_il
    .private_segment_fixed_size: 0
    .sgpr_count:     45
    .sgpr_spill_count: 0
    .symbol:         _ZN9rocsolver6v33100L21larft_kernel_backwardIfPfEEv15rocblas_storev_iiT0_iilPT_lS6_il.kd
    .uniform_work_group_size: 1
    .uses_dynamic_stack: false
    .vgpr_count:     13
    .vgpr_spill_count: 0
    .wavefront_size: 32
    .workgroup_processor_mode: 1
  - .args:
      - .offset:         0
        .size:           4
        .value_kind:     by_value
      - .offset:         4
        .size:           4
        .value_kind:     by_value
      - .address_space:  global
        .offset:         8
        .size:           8
        .value_kind:     global_buffer
      - .offset:         16
        .size:           4
        .value_kind:     by_value
      - .offset:         20
        .size:           4
        .value_kind:     by_value
      - .offset:         24
        .size:           8
        .value_kind:     by_value
      - .address_space:  global
        .offset:         32
        .size:           8
        .value_kind:     global_buffer
      - .offset:         40
        .size:           4
        .value_kind:     hidden_block_count_x
      - .offset:         44
        .size:           4
        .value_kind:     hidden_block_count_y
      - .offset:         48
        .size:           4
        .value_kind:     hidden_block_count_z
      - .offset:         52
        .size:           2
        .value_kind:     hidden_group_size_x
      - .offset:         54
        .size:           2
        .value_kind:     hidden_group_size_y
      - .offset:         56
        .size:           2
        .value_kind:     hidden_group_size_z
      - .offset:         58
        .size:           2
        .value_kind:     hidden_remainder_x
      - .offset:         60
        .size:           2
        .value_kind:     hidden_remainder_y
      - .offset:         62
        .size:           2
        .value_kind:     hidden_remainder_z
      - .offset:         80
        .size:           8
        .value_kind:     hidden_global_offset_x
      - .offset:         88
        .size:           8
        .value_kind:     hidden_global_offset_y
      - .offset:         96
        .size:           8
        .value_kind:     hidden_global_offset_z
      - .offset:         104
        .size:           2
        .value_kind:     hidden_grid_dims
    .group_segment_fixed_size: 0
    .kernarg_segment_align: 8
    .kernarg_segment_size: 296
    .language:       OpenCL C
    .language_version:
      - 2
      - 0
    .max_flat_workgroup_size: 1024
    .name:           _ZN9rocsolver6v33100L9copymatA1IfPfEEviiT0_iilPT_
    .private_segment_fixed_size: 0
    .sgpr_count:     18
    .sgpr_spill_count: 0
    .symbol:         _ZN9rocsolver6v33100L9copymatA1IfPfEEviiT0_iilPT_.kd
    .uniform_work_group_size: 1
    .uses_dynamic_stack: false
    .vgpr_count:     6
    .vgpr_spill_count: 0
    .wavefront_size: 32
    .workgroup_processor_mode: 1
  - .args:
      - .offset:         0
        .size:           4
        .value_kind:     by_value
      - .offset:         4
        .size:           4
        .value_kind:     by_value
      - .address_space:  global
        .offset:         8
        .size:           8
        .value_kind:     global_buffer
      - .offset:         16
        .size:           4
        .value_kind:     by_value
      - .offset:         20
        .size:           4
        .value_kind:     by_value
      - .offset:         24
        .size:           8
        .value_kind:     by_value
      - .address_space:  global
        .offset:         32
        .size:           8
        .value_kind:     global_buffer
      - .offset:         40
        .size:           4
        .value_kind:     hidden_block_count_x
      - .offset:         44
        .size:           4
        .value_kind:     hidden_block_count_y
      - .offset:         48
        .size:           4
        .value_kind:     hidden_block_count_z
      - .offset:         52
        .size:           2
        .value_kind:     hidden_group_size_x
      - .offset:         54
        .size:           2
        .value_kind:     hidden_group_size_y
      - .offset:         56
        .size:           2
        .value_kind:     hidden_group_size_z
      - .offset:         58
        .size:           2
        .value_kind:     hidden_remainder_x
      - .offset:         60
        .size:           2
        .value_kind:     hidden_remainder_y
      - .offset:         62
        .size:           2
        .value_kind:     hidden_remainder_z
      - .offset:         80
        .size:           8
        .value_kind:     hidden_global_offset_x
      - .offset:         88
        .size:           8
        .value_kind:     hidden_global_offset_y
      - .offset:         96
        .size:           8
        .value_kind:     hidden_global_offset_z
      - .offset:         104
        .size:           2
        .value_kind:     hidden_grid_dims
    .group_segment_fixed_size: 0
    .kernarg_segment_align: 8
    .kernarg_segment_size: 296
    .language:       OpenCL C
    .language_version:
      - 2
      - 0
    .max_flat_workgroup_size: 1024
    .name:           _ZN9rocsolver6v33100L8addmatA1IfPfEEviiT0_iilPT_
    .private_segment_fixed_size: 0
    .sgpr_count:     18
    .sgpr_spill_count: 0
    .symbol:         _ZN9rocsolver6v33100L8addmatA1IfPfEEviiT0_iilPT_.kd
    .uniform_work_group_size: 1
    .uses_dynamic_stack: false
    .vgpr_count:     6
    .vgpr_spill_count: 0
    .wavefront_size: 32
    .workgroup_processor_mode: 1
  - .args:
      - .offset:         0
        .size:           4
        .value_kind:     by_value
      - .address_space:  global
        .offset:         8
        .size:           8
        .value_kind:     global_buffer
      - .offset:         16
        .size:           4
        .value_kind:     by_value
      - .offset:         20
        .size:           4
        .value_kind:     by_value
      - .offset:         24
        .size:           8
        .value_kind:     by_value
      - .address_space:  global
        .offset:         32
        .size:           8
        .value_kind:     global_buffer
      - .offset:         40
        .size:           4
        .value_kind:     hidden_block_count_x
      - .offset:         44
        .size:           4
        .value_kind:     hidden_block_count_y
      - .offset:         48
        .size:           4
        .value_kind:     hidden_block_count_z
      - .offset:         52
        .size:           2
        .value_kind:     hidden_group_size_x
      - .offset:         54
        .size:           2
        .value_kind:     hidden_group_size_y
      - .offset:         56
        .size:           2
        .value_kind:     hidden_group_size_z
      - .offset:         58
        .size:           2
        .value_kind:     hidden_remainder_x
      - .offset:         60
        .size:           2
        .value_kind:     hidden_remainder_y
      - .offset:         62
        .size:           2
        .value_kind:     hidden_remainder_z
      - .offset:         80
        .size:           8
        .value_kind:     hidden_global_offset_x
      - .offset:         88
        .size:           8
        .value_kind:     hidden_global_offset_y
      - .offset:         96
        .size:           8
        .value_kind:     hidden_global_offset_z
      - .offset:         104
        .size:           2
        .value_kind:     hidden_grid_dims
    .group_segment_fixed_size: 4
    .kernarg_segment_align: 8
    .kernarg_segment_size: 296
    .language:       OpenCL C
    .language_version:
      - 2
      - 0
    .max_flat_workgroup_size: 1024
    .name:           _ZN9rocsolver6v33100L17check_singularityIfPfEEviT0_iilPi
    .private_segment_fixed_size: 0
    .sgpr_count:     18
    .sgpr_spill_count: 0
    .symbol:         _ZN9rocsolver6v33100L17check_singularityIfPfEEviT0_iilPi.kd
    .uniform_work_group_size: 1
    .uses_dynamic_stack: false
    .vgpr_count:     4
    .vgpr_spill_count: 0
    .wavefront_size: 32
    .workgroup_processor_mode: 1
  - .args:
      - .offset:         0
        .size:           4
        .value_kind:     by_value
      - .offset:         4
        .size:           4
        .value_kind:     by_value
      - .offset:         8
        .size:           4
        .value_kind:     by_value
      - .address_space:  global
        .offset:         16
        .size:           8
        .value_kind:     global_buffer
      - .offset:         24
        .size:           4
        .value_kind:     by_value
      - .offset:         28
        .size:           4
        .value_kind:     by_value
      - .offset:         32
        .size:           8
        .value_kind:     by_value
      - .address_space:  global
        .offset:         40
        .size:           8
        .value_kind:     global_buffer
      - .offset:         48
        .size:           16
        .value_kind:     by_value
      - .offset:         64
        .size:           4
        .value_kind:     by_value
      - .offset:         68
        .size:           4
        .value_kind:     by_value
      - .offset:         72
        .size:           4
        .value_kind:     hidden_block_count_x
      - .offset:         76
        .size:           4
        .value_kind:     hidden_block_count_y
      - .offset:         80
        .size:           4
        .value_kind:     hidden_block_count_z
      - .offset:         84
        .size:           2
        .value_kind:     hidden_group_size_x
      - .offset:         86
        .size:           2
        .value_kind:     hidden_group_size_y
      - .offset:         88
        .size:           2
        .value_kind:     hidden_group_size_z
      - .offset:         90
        .size:           2
        .value_kind:     hidden_remainder_x
      - .offset:         92
        .size:           2
        .value_kind:     hidden_remainder_y
      - .offset:         94
        .size:           2
        .value_kind:     hidden_remainder_z
      - .offset:         112
        .size:           8
        .value_kind:     hidden_global_offset_x
      - .offset:         120
        .size:           8
        .value_kind:     hidden_global_offset_y
      - .offset:         128
        .size:           8
        .value_kind:     hidden_global_offset_z
      - .offset:         136
        .size:           2
        .value_kind:     hidden_grid_dims
    .group_segment_fixed_size: 0
    .kernarg_segment_align: 8
    .kernarg_segment_size: 328
    .language:       OpenCL C
    .language_version:
      - 2
      - 0
    .max_flat_workgroup_size: 1024
    .name:           _ZN9rocsolver6v33100L8copy_matIfPfNS0_9info_maskEEEvNS0_17copymat_directionEiiT0_iilPT_T1_13rocblas_fill_17rocblas_diagonal_
    .private_segment_fixed_size: 0
    .sgpr_count:     20
    .sgpr_spill_count: 0
    .symbol:         _ZN9rocsolver6v33100L8copy_matIfPfNS0_9info_maskEEEvNS0_17copymat_directionEiiT0_iilPT_T1_13rocblas_fill_17rocblas_diagonal_.kd
    .uniform_work_group_size: 1
    .uses_dynamic_stack: false
    .vgpr_count:     6
    .vgpr_spill_count: 0
    .wavefront_size: 32
    .workgroup_processor_mode: 1
  - .args:
      - .offset:         0
        .size:           4
        .value_kind:     by_value
      - .offset:         4
        .size:           4
        .value_kind:     by_value
      - .offset:         8
        .size:           4
        .value_kind:     by_value
      - .address_space:  global
        .offset:         16
        .size:           8
        .value_kind:     global_buffer
      - .offset:         24
        .size:           4
        .value_kind:     by_value
      - .offset:         28
        .size:           4
        .value_kind:     by_value
      - .offset:         32
        .size:           8
        .value_kind:     by_value
      - .address_space:  global
        .offset:         40
        .size:           8
        .value_kind:     global_buffer
      - .offset:         48
        .size:           4
        .value_kind:     hidden_block_count_x
      - .offset:         52
        .size:           4
        .value_kind:     hidden_block_count_y
      - .offset:         56
        .size:           4
        .value_kind:     hidden_block_count_z
      - .offset:         60
        .size:           2
        .value_kind:     hidden_group_size_x
      - .offset:         62
        .size:           2
        .value_kind:     hidden_group_size_y
      - .offset:         64
        .size:           2
        .value_kind:     hidden_group_size_z
      - .offset:         66
        .size:           2
        .value_kind:     hidden_remainder_x
      - .offset:         68
        .size:           2
        .value_kind:     hidden_remainder_y
      - .offset:         70
        .size:           2
        .value_kind:     hidden_remainder_z
      - .offset:         88
        .size:           8
        .value_kind:     hidden_global_offset_x
      - .offset:         96
        .size:           8
        .value_kind:     hidden_global_offset_y
      - .offset:         104
        .size:           8
        .value_kind:     hidden_global_offset_z
      - .offset:         112
        .size:           2
        .value_kind:     hidden_grid_dims
    .group_segment_fixed_size: 0
    .kernarg_segment_align: 8
    .kernarg_segment_size: 304
    .language:       OpenCL C
    .language_version:
      - 2
      - 0
    .max_flat_workgroup_size: 1024
    .name:           _ZN9rocsolver6v33100L13gels_set_zeroIfPfEEviiiT0_iilPKi
    .private_segment_fixed_size: 0
    .sgpr_count:     18
    .sgpr_spill_count: 0
    .symbol:         _ZN9rocsolver6v33100L13gels_set_zeroIfPfEEviiiT0_iilPKi.kd
    .uniform_work_group_size: 1
    .uses_dynamic_stack: false
    .vgpr_count:     5
    .vgpr_spill_count: 0
    .wavefront_size: 32
    .workgroup_processor_mode: 1
  - .args:
      - .address_space:  global
        .offset:         0
        .size:           8
        .value_kind:     global_buffer
      - .offset:         8
        .size:           4
        .value_kind:     by_value
      - .offset:         16
        .size:           8
        .value_kind:     by_value
    .group_segment_fixed_size: 0
    .kernarg_segment_align: 8
    .kernarg_segment_size: 24
    .language:       OpenCL C
    .language_version:
      - 2
      - 0
    .max_flat_workgroup_size: 32
    .name:           _ZN9rocsolver6v33100L6iota_nIdEEvPT_jS2_
    .private_segment_fixed_size: 0
    .sgpr_count:     6
    .sgpr_spill_count: 0
    .symbol:         _ZN9rocsolver6v33100L6iota_nIdEEvPT_jS2_.kd
    .uniform_work_group_size: 1
    .uses_dynamic_stack: false
    .vgpr_count:     3
    .vgpr_spill_count: 0
    .wavefront_size: 32
    .workgroup_processor_mode: 1
  - .args:
      - .offset:         0
        .size:           4
        .value_kind:     by_value
      - .offset:         4
        .size:           4
        .value_kind:     by_value
      - .address_space:  global
        .offset:         8
        .size:           8
        .value_kind:     global_buffer
      - .offset:         16
        .size:           4
        .value_kind:     by_value
      - .offset:         20
        .size:           4
        .value_kind:     by_value
      - .offset:         24
        .size:           8
        .value_kind:     by_value
      - .offset:         32
        .size:           4
        .value_kind:     by_value
      - .offset:         40
        .size:           4
        .value_kind:     hidden_block_count_x
      - .offset:         44
        .size:           4
        .value_kind:     hidden_block_count_y
      - .offset:         48
        .size:           4
        .value_kind:     hidden_block_count_z
      - .offset:         52
        .size:           2
        .value_kind:     hidden_group_size_x
      - .offset:         54
        .size:           2
        .value_kind:     hidden_group_size_y
      - .offset:         56
        .size:           2
        .value_kind:     hidden_group_size_z
      - .offset:         58
        .size:           2
        .value_kind:     hidden_remainder_x
      - .offset:         60
        .size:           2
        .value_kind:     hidden_remainder_y
      - .offset:         62
        .size:           2
        .value_kind:     hidden_remainder_z
      - .offset:         80
        .size:           8
        .value_kind:     hidden_global_offset_x
      - .offset:         88
        .size:           8
        .value_kind:     hidden_global_offset_y
      - .offset:         96
        .size:           8
        .value_kind:     hidden_global_offset_z
      - .offset:         104
        .size:           2
        .value_kind:     hidden_grid_dims
    .group_segment_fixed_size: 0
    .kernarg_segment_align: 8
    .kernarg_segment_size: 296
    .language:       OpenCL C
    .language_version:
      - 2
      - 0
    .max_flat_workgroup_size: 1024
    .name:           _ZN9rocsolver6v33100L8set_zeroIdPdEEviiT0_iil13rocblas_fill_
    .private_segment_fixed_size: 0
    .sgpr_count:     18
    .sgpr_spill_count: 0
    .symbol:         _ZN9rocsolver6v33100L8set_zeroIdPdEEviiT0_iil13rocblas_fill_.kd
    .uniform_work_group_size: 1
    .uses_dynamic_stack: false
    .vgpr_count:     5
    .vgpr_spill_count: 0
    .wavefront_size: 32
    .workgroup_processor_mode: 1
  - .args:
      - .offset:         0
        .size:           4
        .value_kind:     by_value
      - .offset:         4
        .size:           4
        .value_kind:     by_value
      - .address_space:  global
        .offset:         8
        .size:           8
        .value_kind:     global_buffer
      - .offset:         16
        .size:           8
        .value_kind:     by_value
      - .offset:         24
        .size:           4
        .value_kind:     by_value
      - .offset:         32
        .size:           8
        .value_kind:     by_value
      - .address_space:  global
        .offset:         40
        .size:           8
        .value_kind:     global_buffer
      - .offset:         48
        .size:           8
        .value_kind:     by_value
      - .address_space:  global
        .offset:         56
        .size:           8
        .value_kind:     global_buffer
      - .offset:         64
        .size:           8
        .value_kind:     by_value
    .group_segment_fixed_size: 0
    .kernarg_segment_align: 8
    .kernarg_segment_size: 72
    .language:       OpenCL C
    .language_version:
      - 2
      - 0
    .max_flat_workgroup_size: 256
    .name:           _ZN9rocsolver6v33100L18geqr2_kernel_smallILi256EdidPdEEvT1_S3_T3_lS3_lPT2_lPT0_l
    .private_segment_fixed_size: 0
    .sgpr_count:     42
    .sgpr_spill_count: 0
    .symbol:         _ZN9rocsolver6v33100L18geqr2_kernel_smallILi256EdidPdEEvT1_S3_T3_lS3_lPT2_lPT0_l.kd
    .uniform_work_group_size: 1
    .uses_dynamic_stack: false
    .vgpr_count:     36
    .vgpr_spill_count: 0
    .wavefront_size: 32
    .workgroup_processor_mode: 1
  - .args:
      - .address_space:  global
        .offset:         0
        .size:           8
        .value_kind:     global_buffer
      - .offset:         8
        .size:           8
        .value_kind:     by_value
      - .offset:         16
        .size:           4
        .value_kind:     by_value
      - .offset:         20
        .size:           4
        .value_kind:     by_value
      - .offset:         24
        .size:           4
        .value_kind:     hidden_block_count_x
      - .offset:         28
        .size:           4
        .value_kind:     hidden_block_count_y
      - .offset:         32
        .size:           4
        .value_kind:     hidden_block_count_z
      - .offset:         36
        .size:           2
        .value_kind:     hidden_group_size_x
      - .offset:         38
        .size:           2
        .value_kind:     hidden_group_size_y
      - .offset:         40
        .size:           2
        .value_kind:     hidden_group_size_z
      - .offset:         42
        .size:           2
        .value_kind:     hidden_remainder_x
      - .offset:         44
        .size:           2
        .value_kind:     hidden_remainder_y
      - .offset:         46
        .size:           2
        .value_kind:     hidden_remainder_z
      - .offset:         64
        .size:           8
        .value_kind:     hidden_global_offset_x
      - .offset:         72
        .size:           8
        .value_kind:     hidden_global_offset_y
      - .offset:         80
        .size:           8
        .value_kind:     hidden_global_offset_z
      - .offset:         88
        .size:           2
        .value_kind:     hidden_grid_dims
    .group_segment_fixed_size: 0
    .kernarg_segment_align: 8
    .kernarg_segment_size: 280
    .language:       OpenCL C
    .language_version:
      - 2
      - 0
    .max_flat_workgroup_size: 1024
    .name:           _ZN9rocsolver6v33100L16reset_batch_infoIdiiPdEEvT2_lT0_T1_
    .private_segment_fixed_size: 0
    .sgpr_count:     18
    .sgpr_spill_count: 0
    .symbol:         _ZN9rocsolver6v33100L16reset_batch_infoIdiiPdEEvT2_lT0_T1_.kd
    .uniform_work_group_size: 1
    .uses_dynamic_stack: false
    .vgpr_count:     5
    .vgpr_spill_count: 0
    .wavefront_size: 32
    .workgroup_processor_mode: 1
  - .args:
      - .address_space:  global
        .offset:         0
        .size:           8
        .value_kind:     global_buffer
      - .offset:         8
        .size:           8
        .value_kind:     by_value
      - .offset:         16
        .size:           8
        .value_kind:     by_value
      - .address_space:  global
        .offset:         24
        .size:           8
        .value_kind:     global_buffer
      - .offset:         32
        .size:           8
        .value_kind:     by_value
      - .offset:         40
        .size:           4
        .value_kind:     by_value
      - .offset:         48
        .size:           8
        .value_kind:     by_value
      - .offset:         56
        .size:           4
        .value_kind:     by_value
      - .offset:         60
        .size:           1
        .value_kind:     by_value
      - .offset:         64
        .size:           4
        .value_kind:     hidden_block_count_x
      - .offset:         68
        .size:           4
        .value_kind:     hidden_block_count_y
      - .offset:         72
        .size:           4
        .value_kind:     hidden_block_count_z
      - .offset:         76
        .size:           2
        .value_kind:     hidden_group_size_x
      - .offset:         78
        .size:           2
        .value_kind:     hidden_group_size_y
      - .offset:         80
        .size:           2
        .value_kind:     hidden_group_size_z
      - .offset:         82
        .size:           2
        .value_kind:     hidden_remainder_x
      - .offset:         84
        .size:           2
        .value_kind:     hidden_remainder_y
      - .offset:         86
        .size:           2
        .value_kind:     hidden_remainder_z
      - .offset:         104
        .size:           8
        .value_kind:     hidden_global_offset_x
      - .offset:         112
        .size:           8
        .value_kind:     hidden_global_offset_y
      - .offset:         120
        .size:           8
        .value_kind:     hidden_global_offset_z
      - .offset:         128
        .size:           2
        .value_kind:     hidden_grid_dims
    .group_segment_fixed_size: 0
    .kernarg_segment_align: 8
    .kernarg_segment_size: 320
    .language:       OpenCL C
    .language_version:
      - 2
      - 0
    .max_flat_workgroup_size: 1024
    .name:           _ZN9rocsolver6v33100L8set_diagIdidPdTnNSt9enable_ifIXoont18rocblas_is_complexIT_E18rocblas_is_complexIT1_EEiE4typeELi0EEEvPS5_llT2_lT0_lSA_b
    .private_segment_fixed_size: 0
    .sgpr_count:     19
    .sgpr_spill_count: 0
    .symbol:         _ZN9rocsolver6v33100L8set_diagIdidPdTnNSt9enable_ifIXoont18rocblas_is_complexIT_E18rocblas_is_complexIT1_EEiE4typeELi0EEEvPS5_llT2_lT0_lSA_b.kd
    .uniform_work_group_size: 1
    .uses_dynamic_stack: false
    .vgpr_count:     9
    .vgpr_spill_count: 0
    .wavefront_size: 32
    .workgroup_processor_mode: 1
  - .args:
      - .address_space:  global
        .offset:         0
        .size:           8
        .value_kind:     global_buffer
      - .offset:         8
        .size:           8
        .value_kind:     by_value
      - .address_space:  global
        .offset:         16
        .size:           8
        .value_kind:     global_buffer
      - .address_space:  global
        .offset:         24
        .size:           8
        .value_kind:     global_buffer
      - .offset:         32
        .size:           8
        .value_kind:     by_value
      - .offset:         40
        .size:           8
        .value_kind:     by_value
      - .address_space:  global
        .offset:         48
        .size:           8
        .value_kind:     global_buffer
      - .offset:         56
        .size:           8
        .value_kind:     by_value
      - .offset:         64
        .size:           8
        .value_kind:     by_value
    .group_segment_fixed_size: 0
    .kernarg_segment_align: 8
    .kernarg_segment_size: 72
    .language:       OpenCL C
    .language_version:
      - 2
      - 0
    .max_flat_workgroup_size: 1024
    .name:           _ZN9rocsolver6v33100L11set_taubetaIdidPdEEvPT_lS4_T2_llPT1_ll
    .private_segment_fixed_size: 0
    .sgpr_count:     24
    .sgpr_spill_count: 0
    .symbol:         _ZN9rocsolver6v33100L11set_taubetaIdidPdEEvPT_lS4_T2_llPT1_ll.kd
    .uniform_work_group_size: 1
    .uses_dynamic_stack: false
    .vgpr_count:     13
    .vgpr_spill_count: 0
    .wavefront_size: 32
    .workgroup_processor_mode: 1
  - .args:
      - .offset:         0
        .size:           4
        .value_kind:     by_value
      - .offset:         4
        .size:           4
        .value_kind:     by_value
      - .address_space:  global
        .offset:         8
        .size:           8
        .value_kind:     global_buffer
      - .offset:         16
        .size:           8
        .value_kind:     by_value
      - .offset:         24
        .size:           4
        .value_kind:     by_value
      - .offset:         32
        .size:           8
        .value_kind:     by_value
    .group_segment_fixed_size: 0
    .kernarg_segment_align: 8
    .kernarg_segment_size: 40
    .language:       OpenCL C
    .language_version:
      - 2
      - 0
    .max_flat_workgroup_size: 1024
    .name:           _ZN9rocsolver6v33100L13conj_in_placeIdiPdTnNSt9enable_ifIXnt18rocblas_is_complexIT_EEiE4typeELi0EEEvT0_S7_T1_lS7_l
    .private_segment_fixed_size: 0
    .sgpr_count:     0
    .sgpr_spill_count: 0
    .symbol:         _ZN9rocsolver6v33100L13conj_in_placeIdiPdTnNSt9enable_ifIXnt18rocblas_is_complexIT_EEiE4typeELi0EEEvT0_S7_T1_lS7_l.kd
    .uniform_work_group_size: 1
    .uses_dynamic_stack: false
    .vgpr_count:     0
    .vgpr_spill_count: 0
    .wavefront_size: 32
    .workgroup_processor_mode: 1
  - .args:
      - .offset:         0
        .size:           4
        .value_kind:     by_value
      - .offset:         4
        .size:           4
        .value_kind:     by_value
      - .address_space:  global
        .offset:         8
        .size:           8
        .value_kind:     global_buffer
      - .offset:         16
        .size:           8
        .value_kind:     by_value
      - .offset:         24
        .size:           4
        .value_kind:     by_value
      - .offset:         32
        .size:           8
        .value_kind:     by_value
      - .address_space:  global
        .offset:         40
        .size:           8
        .value_kind:     global_buffer
      - .offset:         48
        .size:           8
        .value_kind:     by_value
      - .address_space:  global
        .offset:         56
        .size:           8
        .value_kind:     global_buffer
      - .offset:         64
        .size:           8
        .value_kind:     by_value
      - .offset:         72
        .size:           4
        .value_kind:     by_value
      - .offset:         80
        .size:           8
        .value_kind:     by_value
    .group_segment_fixed_size: 0
    .kernarg_segment_align: 8
    .kernarg_segment_size: 88
    .language:       OpenCL C
    .language_version:
      - 2
      - 0
    .max_flat_workgroup_size: 1024
    .name:           _ZN9rocsolver6v33100L16larf_left_kernelILi1024EdiPdEEvT1_S3_T2_lS3_lPKT0_lS4_lS3_l
    .private_segment_fixed_size: 0
    .sgpr_count:     32
    .sgpr_spill_count: 0
    .symbol:         _ZN9rocsolver6v33100L16larf_left_kernelILi1024EdiPdEEvT1_S3_T2_lS3_lPKT0_lS4_lS3_l.kd
    .uniform_work_group_size: 1
    .uses_dynamic_stack: false
    .vgpr_count:     15
    .vgpr_spill_count: 0
    .wavefront_size: 32
    .workgroup_processor_mode: 1
  - .args:
      - .offset:         0
        .size:           4
        .value_kind:     by_value
      - .offset:         4
        .size:           4
        .value_kind:     by_value
      - .address_space:  global
        .offset:         8
        .size:           8
        .value_kind:     global_buffer
      - .offset:         16
        .size:           8
        .value_kind:     by_value
      - .offset:         24
        .size:           4
        .value_kind:     by_value
      - .offset:         32
        .size:           8
        .value_kind:     by_value
      - .address_space:  global
        .offset:         40
        .size:           8
        .value_kind:     global_buffer
      - .offset:         48
        .size:           8
        .value_kind:     by_value
      - .address_space:  global
        .offset:         56
        .size:           8
        .value_kind:     global_buffer
      - .offset:         64
        .size:           8
        .value_kind:     by_value
      - .offset:         72
        .size:           4
        .value_kind:     by_value
      - .offset:         80
        .size:           8
        .value_kind:     by_value
    .group_segment_fixed_size: 0
    .kernarg_segment_align: 8
    .kernarg_segment_size: 88
    .language:       OpenCL C
    .language_version:
      - 2
      - 0
    .max_flat_workgroup_size: 1024
    .name:           _ZN9rocsolver6v33100L17larf_right_kernelILi1024EdiPdEEvT1_S3_T2_lS3_lPKT0_lS4_lS3_l
    .private_segment_fixed_size: 0
    .sgpr_count:     36
    .sgpr_spill_count: 0
    .symbol:         _ZN9rocsolver6v33100L17larf_right_kernelILi1024EdiPdEEvT1_S3_T2_lS3_lPKT0_lS4_lS3_l.kd
    .uniform_work_group_size: 1
    .uses_dynamic_stack: false
    .vgpr_count:     15
    .vgpr_spill_count: 0
    .wavefront_size: 32
    .workgroup_processor_mode: 1
  - .args:
      - .address_space:  global
        .offset:         0
        .size:           8
        .value_kind:     global_buffer
      - .offset:         8
        .size:           8
        .value_kind:     by_value
      - .offset:         16
        .size:           8
        .value_kind:     by_value
      - .address_space:  global
        .offset:         24
        .size:           8
        .value_kind:     global_buffer
      - .offset:         32
        .size:           8
        .value_kind:     by_value
      - .offset:         40
        .size:           4
        .value_kind:     by_value
      - .offset:         48
        .size:           8
        .value_kind:     by_value
      - .offset:         56
        .size:           4
        .value_kind:     by_value
      - .offset:         64
        .size:           4
        .value_kind:     hidden_block_count_x
      - .offset:         68
        .size:           4
        .value_kind:     hidden_block_count_y
      - .offset:         72
        .size:           4
        .value_kind:     hidden_block_count_z
      - .offset:         76
        .size:           2
        .value_kind:     hidden_group_size_x
      - .offset:         78
        .size:           2
        .value_kind:     hidden_group_size_y
      - .offset:         80
        .size:           2
        .value_kind:     hidden_group_size_z
      - .offset:         82
        .size:           2
        .value_kind:     hidden_remainder_x
      - .offset:         84
        .size:           2
        .value_kind:     hidden_remainder_y
      - .offset:         86
        .size:           2
        .value_kind:     hidden_remainder_z
      - .offset:         104
        .size:           8
        .value_kind:     hidden_global_offset_x
      - .offset:         112
        .size:           8
        .value_kind:     hidden_global_offset_y
      - .offset:         120
        .size:           8
        .value_kind:     hidden_global_offset_z
      - .offset:         128
        .size:           2
        .value_kind:     hidden_grid_dims
    .group_segment_fixed_size: 0
    .kernarg_segment_align: 8
    .kernarg_segment_size: 320
    .language:       OpenCL C
    .language_version:
      - 2
      - 0
    .max_flat_workgroup_size: 1024
    .name:           _ZN9rocsolver6v33100L12restore_diagIdidPdEEvPT1_llT2_lT0_lS6_
    .private_segment_fixed_size: 0
    .sgpr_count:     19
    .sgpr_spill_count: 0
    .symbol:         _ZN9rocsolver6v33100L12restore_diagIdidPdEEvPT1_llT2_lT0_lS6_.kd
    .uniform_work_group_size: 1
    .uses_dynamic_stack: false
    .vgpr_count:     4
    .vgpr_spill_count: 0
    .wavefront_size: 32
    .workgroup_processor_mode: 1
  - .args:
      - .offset:         0
        .size:           4
        .value_kind:     by_value
      - .offset:         4
        .size:           4
        .value_kind:     by_value
      - .address_space:  global
        .offset:         8
        .size:           8
        .value_kind:     global_buffer
      - .offset:         16
        .size:           4
        .value_kind:     by_value
      - .offset:         20
        .size:           4
        .value_kind:     by_value
      - .offset:         24
        .size:           8
        .value_kind:     by_value
      - .address_space:  global
        .offset:         32
        .size:           8
        .value_kind:     global_buffer
      - .offset:         40
        .size:           8
        .value_kind:     by_value
      - .address_space:  global
        .offset:         48
        .size:           8
        .value_kind:     global_buffer
      - .offset:         56
        .size:           4
        .value_kind:     by_value
      - .offset:         64
        .size:           8
        .value_kind:     by_value
      - .offset:         72
        .size:           4
        .value_kind:     by_value
      - .offset:         76
        .size:           4
        .value_kind:     by_value
      - .offset:         80
        .size:           1
        .value_kind:     by_value
      - .offset:         88
        .size:           4
        .value_kind:     hidden_block_count_x
      - .offset:         92
        .size:           4
        .value_kind:     hidden_block_count_y
      - .offset:         96
        .size:           4
        .value_kind:     hidden_block_count_z
      - .offset:         100
        .size:           2
        .value_kind:     hidden_group_size_x
      - .offset:         102
        .size:           2
        .value_kind:     hidden_group_size_y
      - .offset:         104
        .size:           2
        .value_kind:     hidden_group_size_z
      - .offset:         106
        .size:           2
        .value_kind:     hidden_remainder_x
      - .offset:         108
        .size:           2
        .value_kind:     hidden_remainder_y
      - .offset:         110
        .size:           2
        .value_kind:     hidden_remainder_z
      - .offset:         128
        .size:           8
        .value_kind:     hidden_global_offset_x
      - .offset:         136
        .size:           8
        .value_kind:     hidden_global_offset_y
      - .offset:         144
        .size:           8
        .value_kind:     hidden_global_offset_z
      - .offset:         152
        .size:           2
        .value_kind:     hidden_grid_dims
    .group_segment_fixed_size: 0
    .kernarg_segment_align: 8
    .kernarg_segment_size: 344
    .language:       OpenCL C
    .language_version:
      - 2
      - 0
    .max_flat_workgroup_size: 1024
    .name:           _ZN9rocsolver6v33100L14set_triangularIdPdTnNSt9enable_ifIXnt18rocblas_is_complexIT_EEiE4typeELi0EEEviiT0_iilPS4_lS8_il15rocblas_direct_15rocblas_storev_b
    .private_segment_fixed_size: 0
    .sgpr_count:     24
    .sgpr_spill_count: 0
    .symbol:         _ZN9rocsolver6v33100L14set_triangularIdPdTnNSt9enable_ifIXnt18rocblas_is_complexIT_EEiE4typeELi0EEEviiT0_iilPS4_lS8_il15rocblas_direct_15rocblas_storev_b.kd
    .uniform_work_group_size: 1
    .uses_dynamic_stack: false
    .vgpr_count:     15
    .vgpr_spill_count: 0
    .wavefront_size: 32
    .workgroup_processor_mode: 1
  - .args:
      - .offset:         0
        .size:           4
        .value_kind:     by_value
      - .address_space:  global
        .offset:         8
        .size:           8
        .value_kind:     global_buffer
      - .offset:         16
        .size:           8
        .value_kind:     by_value
      - .offset:         24
        .size:           4
        .value_kind:     hidden_block_count_x
      - .offset:         28
        .size:           4
        .value_kind:     hidden_block_count_y
      - .offset:         32
        .size:           4
        .value_kind:     hidden_block_count_z
      - .offset:         36
        .size:           2
        .value_kind:     hidden_group_size_x
      - .offset:         38
        .size:           2
        .value_kind:     hidden_group_size_y
      - .offset:         40
        .size:           2
        .value_kind:     hidden_group_size_z
      - .offset:         42
        .size:           2
        .value_kind:     hidden_remainder_x
      - .offset:         44
        .size:           2
        .value_kind:     hidden_remainder_y
      - .offset:         46
        .size:           2
        .value_kind:     hidden_remainder_z
      - .offset:         64
        .size:           8
        .value_kind:     hidden_global_offset_x
      - .offset:         72
        .size:           8
        .value_kind:     hidden_global_offset_y
      - .offset:         80
        .size:           8
        .value_kind:     hidden_global_offset_z
      - .offset:         88
        .size:           2
        .value_kind:     hidden_grid_dims
    .group_segment_fixed_size: 0
    .kernarg_segment_align: 8
    .kernarg_segment_size: 280
    .language:       OpenCL C
    .language_version:
      - 2
      - 0
    .max_flat_workgroup_size: 1024
    .name:           _ZN9rocsolver6v33100L7set_tauIdEEviPT_l
    .private_segment_fixed_size: 0
    .sgpr_count:     18
    .sgpr_spill_count: 0
    .symbol:         _ZN9rocsolver6v33100L7set_tauIdEEviPT_l.kd
    .uniform_work_group_size: 1
    .uses_dynamic_stack: false
    .vgpr_count:     4
    .vgpr_spill_count: 0
    .wavefront_size: 32
    .workgroup_processor_mode: 1
  - .args:
      - .offset:         0
        .size:           4
        .value_kind:     by_value
      - .offset:         4
        .size:           4
        .value_kind:     by_value
      - .offset:         8
        .size:           4
        .value_kind:     by_value
      - .address_space:  global
        .offset:         16
        .size:           8
        .value_kind:     global_buffer
      - .offset:         24
        .size:           4
        .value_kind:     by_value
      - .offset:         28
        .size:           4
        .value_kind:     by_value
      - .offset:         32
        .size:           8
        .value_kind:     by_value
      - .address_space:  global
        .offset:         40
        .size:           8
        .value_kind:     global_buffer
      - .offset:         48
        .size:           8
        .value_kind:     by_value
      - .address_space:  global
        .offset:         56
        .size:           8
        .value_kind:     global_buffer
      - .offset:         64
        .size:           4
        .value_kind:     by_value
      - .offset:         72
        .size:           8
        .value_kind:     by_value
      - .offset:         80
        .size:           4
        .value_kind:     hidden_block_count_x
      - .offset:         84
        .size:           4
        .value_kind:     hidden_block_count_y
      - .offset:         88
        .size:           4
        .value_kind:     hidden_block_count_z
      - .offset:         92
        .size:           2
        .value_kind:     hidden_group_size_x
      - .offset:         94
        .size:           2
        .value_kind:     hidden_group_size_y
      - .offset:         96
        .size:           2
        .value_kind:     hidden_group_size_z
      - .offset:         98
        .size:           2
        .value_kind:     hidden_remainder_x
      - .offset:         100
        .size:           2
        .value_kind:     hidden_remainder_y
      - .offset:         102
        .size:           2
        .value_kind:     hidden_remainder_z
      - .offset:         120
        .size:           8
        .value_kind:     hidden_global_offset_x
      - .offset:         128
        .size:           8
        .value_kind:     hidden_global_offset_y
      - .offset:         136
        .size:           8
        .value_kind:     hidden_global_offset_z
      - .offset:         144
        .size:           2
        .value_kind:     hidden_grid_dims
      - .offset:         200
        .size:           4
        .value_kind:     hidden_dynamic_lds_size
    .group_segment_fixed_size: 0
    .kernarg_segment_align: 8
    .kernarg_segment_size: 336
    .language:       OpenCL C
    .language_version:
      - 2
      - 0
    .max_flat_workgroup_size: 1024
    .name:           _ZN9rocsolver6v33100L20larft_kernel_forwardIdPdEEv15rocblas_storev_iiT0_iilPT_lS6_il
    .private_segment_fixed_size: 0
    .sgpr_count:     46
    .sgpr_spill_count: 0
    .symbol:         _ZN9rocsolver6v33100L20larft_kernel_forwardIdPdEEv15rocblas_storev_iiT0_iilPT_lS6_il.kd
    .uniform_work_group_size: 1
    .uses_dynamic_stack: false
    .vgpr_count:     19
    .vgpr_spill_count: 0
    .wavefront_size: 32
    .workgroup_processor_mode: 1
  - .args:
      - .offset:         0
        .size:           4
        .value_kind:     by_value
      - .offset:         4
        .size:           4
        .value_kind:     by_value
      - .offset:         8
        .size:           4
        .value_kind:     by_value
      - .address_space:  global
        .offset:         16
        .size:           8
        .value_kind:     global_buffer
      - .offset:         24
        .size:           4
        .value_kind:     by_value
      - .offset:         28
        .size:           4
        .value_kind:     by_value
      - .offset:         32
        .size:           8
        .value_kind:     by_value
      - .address_space:  global
        .offset:         40
        .size:           8
        .value_kind:     global_buffer
      - .offset:         48
        .size:           8
        .value_kind:     by_value
      - .address_space:  global
        .offset:         56
        .size:           8
        .value_kind:     global_buffer
      - .offset:         64
        .size:           4
        .value_kind:     by_value
      - .offset:         72
        .size:           8
        .value_kind:     by_value
      - .offset:         80
        .size:           4
        .value_kind:     hidden_block_count_x
      - .offset:         84
        .size:           4
        .value_kind:     hidden_block_count_y
      - .offset:         88
        .size:           4
        .value_kind:     hidden_block_count_z
      - .offset:         92
        .size:           2
        .value_kind:     hidden_group_size_x
      - .offset:         94
        .size:           2
        .value_kind:     hidden_group_size_y
      - .offset:         96
        .size:           2
        .value_kind:     hidden_group_size_z
      - .offset:         98
        .size:           2
        .value_kind:     hidden_remainder_x
      - .offset:         100
        .size:           2
        .value_kind:     hidden_remainder_y
      - .offset:         102
        .size:           2
        .value_kind:     hidden_remainder_z
      - .offset:         120
        .size:           8
        .value_kind:     hidden_global_offset_x
      - .offset:         128
        .size:           8
        .value_kind:     hidden_global_offset_y
      - .offset:         136
        .size:           8
        .value_kind:     hidden_global_offset_z
      - .offset:         144
        .size:           2
        .value_kind:     hidden_grid_dims
      - .offset:         200
        .size:           4
        .value_kind:     hidden_dynamic_lds_size
    .group_segment_fixed_size: 0
    .kernarg_segment_align: 8
    .kernarg_segment_size: 336
    .language:       OpenCL C
    .language_version:
      - 2
      - 0
    .max_flat_workgroup_size: 1024
    .name:           _ZN9rocsolver6v33100L21larft_kernel_backwardIdPdEEv15rocblas_storev_iiT0_iilPT_lS6_il
    .private_segment_fixed_size: 0
    .sgpr_count:     48
    .sgpr_spill_count: 0
    .symbol:         _ZN9rocsolver6v33100L21larft_kernel_backwardIdPdEEv15rocblas_storev_iiT0_iilPT_lS6_il.kd
    .uniform_work_group_size: 1
    .uses_dynamic_stack: false
    .vgpr_count:     16
    .vgpr_spill_count: 0
    .wavefront_size: 32
    .workgroup_processor_mode: 1
  - .args:
      - .offset:         0
        .size:           4
        .value_kind:     by_value
      - .offset:         4
        .size:           4
        .value_kind:     by_value
      - .address_space:  global
        .offset:         8
        .size:           8
        .value_kind:     global_buffer
      - .offset:         16
        .size:           4
        .value_kind:     by_value
      - .offset:         20
        .size:           4
        .value_kind:     by_value
      - .offset:         24
        .size:           8
        .value_kind:     by_value
      - .address_space:  global
        .offset:         32
        .size:           8
        .value_kind:     global_buffer
      - .offset:         40
        .size:           4
        .value_kind:     hidden_block_count_x
      - .offset:         44
        .size:           4
        .value_kind:     hidden_block_count_y
      - .offset:         48
        .size:           4
        .value_kind:     hidden_block_count_z
      - .offset:         52
        .size:           2
        .value_kind:     hidden_group_size_x
      - .offset:         54
        .size:           2
        .value_kind:     hidden_group_size_y
      - .offset:         56
        .size:           2
        .value_kind:     hidden_group_size_z
      - .offset:         58
        .size:           2
        .value_kind:     hidden_remainder_x
      - .offset:         60
        .size:           2
        .value_kind:     hidden_remainder_y
      - .offset:         62
        .size:           2
        .value_kind:     hidden_remainder_z
      - .offset:         80
        .size:           8
        .value_kind:     hidden_global_offset_x
      - .offset:         88
        .size:           8
        .value_kind:     hidden_global_offset_y
      - .offset:         96
        .size:           8
        .value_kind:     hidden_global_offset_z
      - .offset:         104
        .size:           2
        .value_kind:     hidden_grid_dims
    .group_segment_fixed_size: 0
    .kernarg_segment_align: 8
    .kernarg_segment_size: 296
    .language:       OpenCL C
    .language_version:
      - 2
      - 0
    .max_flat_workgroup_size: 1024
    .name:           _ZN9rocsolver6v33100L9copymatA1IdPdEEviiT0_iilPT_
    .private_segment_fixed_size: 0
    .sgpr_count:     18
    .sgpr_spill_count: 0
    .symbol:         _ZN9rocsolver6v33100L9copymatA1IdPdEEviiT0_iilPT_.kd
    .uniform_work_group_size: 1
    .uses_dynamic_stack: false
    .vgpr_count:     8
    .vgpr_spill_count: 0
    .wavefront_size: 32
    .workgroup_processor_mode: 1
  - .args:
      - .offset:         0
        .size:           4
        .value_kind:     by_value
      - .offset:         4
        .size:           4
        .value_kind:     by_value
      - .address_space:  global
        .offset:         8
        .size:           8
        .value_kind:     global_buffer
      - .offset:         16
        .size:           4
        .value_kind:     by_value
      - .offset:         20
        .size:           4
        .value_kind:     by_value
      - .offset:         24
        .size:           8
        .value_kind:     by_value
      - .address_space:  global
        .offset:         32
        .size:           8
        .value_kind:     global_buffer
      - .offset:         40
        .size:           4
        .value_kind:     hidden_block_count_x
      - .offset:         44
        .size:           4
        .value_kind:     hidden_block_count_y
      - .offset:         48
        .size:           4
        .value_kind:     hidden_block_count_z
      - .offset:         52
        .size:           2
        .value_kind:     hidden_group_size_x
      - .offset:         54
        .size:           2
        .value_kind:     hidden_group_size_y
      - .offset:         56
        .size:           2
        .value_kind:     hidden_group_size_z
      - .offset:         58
        .size:           2
        .value_kind:     hidden_remainder_x
      - .offset:         60
        .size:           2
        .value_kind:     hidden_remainder_y
      - .offset:         62
        .size:           2
        .value_kind:     hidden_remainder_z
      - .offset:         80
        .size:           8
        .value_kind:     hidden_global_offset_x
      - .offset:         88
        .size:           8
        .value_kind:     hidden_global_offset_y
      - .offset:         96
        .size:           8
        .value_kind:     hidden_global_offset_z
      - .offset:         104
        .size:           2
        .value_kind:     hidden_grid_dims
    .group_segment_fixed_size: 0
    .kernarg_segment_align: 8
    .kernarg_segment_size: 296
    .language:       OpenCL C
    .language_version:
      - 2
      - 0
    .max_flat_workgroup_size: 1024
    .name:           _ZN9rocsolver6v33100L8addmatA1IdPdEEviiT0_iilPT_
    .private_segment_fixed_size: 0
    .sgpr_count:     18
    .sgpr_spill_count: 0
    .symbol:         _ZN9rocsolver6v33100L8addmatA1IdPdEEviiT0_iilPT_.kd
    .uniform_work_group_size: 1
    .uses_dynamic_stack: false
    .vgpr_count:     6
    .vgpr_spill_count: 0
    .wavefront_size: 32
    .workgroup_processor_mode: 1
  - .args:
      - .offset:         0
        .size:           4
        .value_kind:     by_value
      - .address_space:  global
        .offset:         8
        .size:           8
        .value_kind:     global_buffer
      - .offset:         16
        .size:           4
        .value_kind:     by_value
      - .offset:         20
        .size:           4
        .value_kind:     by_value
      - .offset:         24
        .size:           8
        .value_kind:     by_value
      - .address_space:  global
        .offset:         32
        .size:           8
        .value_kind:     global_buffer
      - .offset:         40
        .size:           4
        .value_kind:     hidden_block_count_x
      - .offset:         44
        .size:           4
        .value_kind:     hidden_block_count_y
      - .offset:         48
        .size:           4
        .value_kind:     hidden_block_count_z
      - .offset:         52
        .size:           2
        .value_kind:     hidden_group_size_x
      - .offset:         54
        .size:           2
        .value_kind:     hidden_group_size_y
      - .offset:         56
        .size:           2
        .value_kind:     hidden_group_size_z
      - .offset:         58
        .size:           2
        .value_kind:     hidden_remainder_x
      - .offset:         60
        .size:           2
        .value_kind:     hidden_remainder_y
      - .offset:         62
        .size:           2
        .value_kind:     hidden_remainder_z
      - .offset:         80
        .size:           8
        .value_kind:     hidden_global_offset_x
      - .offset:         88
        .size:           8
        .value_kind:     hidden_global_offset_y
      - .offset:         96
        .size:           8
        .value_kind:     hidden_global_offset_z
      - .offset:         104
        .size:           2
        .value_kind:     hidden_grid_dims
    .group_segment_fixed_size: 4
    .kernarg_segment_align: 8
    .kernarg_segment_size: 296
    .language:       OpenCL C
    .language_version:
      - 2
      - 0
    .max_flat_workgroup_size: 1024
    .name:           _ZN9rocsolver6v33100L17check_singularityIdPdEEviT0_iilPi
    .private_segment_fixed_size: 0
    .sgpr_count:     18
    .sgpr_spill_count: 0
    .symbol:         _ZN9rocsolver6v33100L17check_singularityIdPdEEviT0_iilPi.kd
    .uniform_work_group_size: 1
    .uses_dynamic_stack: false
    .vgpr_count:     4
    .vgpr_spill_count: 0
    .wavefront_size: 32
    .workgroup_processor_mode: 1
  - .args:
      - .offset:         0
        .size:           4
        .value_kind:     by_value
      - .offset:         4
        .size:           4
        .value_kind:     by_value
      - .offset:         8
        .size:           4
        .value_kind:     by_value
      - .address_space:  global
        .offset:         16
        .size:           8
        .value_kind:     global_buffer
      - .offset:         24
        .size:           4
        .value_kind:     by_value
      - .offset:         28
        .size:           4
        .value_kind:     by_value
      - .offset:         32
        .size:           8
        .value_kind:     by_value
      - .address_space:  global
        .offset:         40
        .size:           8
        .value_kind:     global_buffer
      - .offset:         48
        .size:           16
        .value_kind:     by_value
      - .offset:         64
        .size:           4
        .value_kind:     by_value
      - .offset:         68
        .size:           4
        .value_kind:     by_value
      - .offset:         72
        .size:           4
        .value_kind:     hidden_block_count_x
      - .offset:         76
        .size:           4
        .value_kind:     hidden_block_count_y
      - .offset:         80
        .size:           4
        .value_kind:     hidden_block_count_z
      - .offset:         84
        .size:           2
        .value_kind:     hidden_group_size_x
      - .offset:         86
        .size:           2
        .value_kind:     hidden_group_size_y
      - .offset:         88
        .size:           2
        .value_kind:     hidden_group_size_z
      - .offset:         90
        .size:           2
        .value_kind:     hidden_remainder_x
      - .offset:         92
        .size:           2
        .value_kind:     hidden_remainder_y
      - .offset:         94
        .size:           2
        .value_kind:     hidden_remainder_z
      - .offset:         112
        .size:           8
        .value_kind:     hidden_global_offset_x
      - .offset:         120
        .size:           8
        .value_kind:     hidden_global_offset_y
      - .offset:         128
        .size:           8
        .value_kind:     hidden_global_offset_z
      - .offset:         136
        .size:           2
        .value_kind:     hidden_grid_dims
    .group_segment_fixed_size: 0
    .kernarg_segment_align: 8
    .kernarg_segment_size: 328
    .language:       OpenCL C
    .language_version:
      - 2
      - 0
    .max_flat_workgroup_size: 1024
    .name:           _ZN9rocsolver6v33100L8copy_matIdPdNS0_9info_maskEEEvNS0_17copymat_directionEiiT0_iilPT_T1_13rocblas_fill_17rocblas_diagonal_
    .private_segment_fixed_size: 0
    .sgpr_count:     20
    .sgpr_spill_count: 0
    .symbol:         _ZN9rocsolver6v33100L8copy_matIdPdNS0_9info_maskEEEvNS0_17copymat_directionEiiT0_iilPT_T1_13rocblas_fill_17rocblas_diagonal_.kd
    .uniform_work_group_size: 1
    .uses_dynamic_stack: false
    .vgpr_count:     8
    .vgpr_spill_count: 0
    .wavefront_size: 32
    .workgroup_processor_mode: 1
  - .args:
      - .offset:         0
        .size:           4
        .value_kind:     by_value
      - .offset:         4
        .size:           4
        .value_kind:     by_value
      - .offset:         8
        .size:           4
        .value_kind:     by_value
      - .address_space:  global
        .offset:         16
        .size:           8
        .value_kind:     global_buffer
      - .offset:         24
        .size:           4
        .value_kind:     by_value
      - .offset:         28
        .size:           4
        .value_kind:     by_value
      - .offset:         32
        .size:           8
        .value_kind:     by_value
      - .address_space:  global
        .offset:         40
        .size:           8
        .value_kind:     global_buffer
      - .offset:         48
        .size:           4
        .value_kind:     hidden_block_count_x
      - .offset:         52
        .size:           4
        .value_kind:     hidden_block_count_y
      - .offset:         56
        .size:           4
        .value_kind:     hidden_block_count_z
      - .offset:         60
        .size:           2
        .value_kind:     hidden_group_size_x
      - .offset:         62
        .size:           2
        .value_kind:     hidden_group_size_y
      - .offset:         64
        .size:           2
        .value_kind:     hidden_group_size_z
      - .offset:         66
        .size:           2
        .value_kind:     hidden_remainder_x
      - .offset:         68
        .size:           2
        .value_kind:     hidden_remainder_y
      - .offset:         70
        .size:           2
        .value_kind:     hidden_remainder_z
      - .offset:         88
        .size:           8
        .value_kind:     hidden_global_offset_x
      - .offset:         96
        .size:           8
        .value_kind:     hidden_global_offset_y
      - .offset:         104
        .size:           8
        .value_kind:     hidden_global_offset_z
      - .offset:         112
        .size:           2
        .value_kind:     hidden_grid_dims
    .group_segment_fixed_size: 0
    .kernarg_segment_align: 8
    .kernarg_segment_size: 304
    .language:       OpenCL C
    .language_version:
      - 2
      - 0
    .max_flat_workgroup_size: 1024
    .name:           _ZN9rocsolver6v33100L13gels_set_zeroIdPdEEviiiT0_iilPKi
    .private_segment_fixed_size: 0
    .sgpr_count:     18
    .sgpr_spill_count: 0
    .symbol:         _ZN9rocsolver6v33100L13gels_set_zeroIdPdEEviiiT0_iilPKi.kd
    .uniform_work_group_size: 1
    .uses_dynamic_stack: false
    .vgpr_count:     5
    .vgpr_spill_count: 0
    .wavefront_size: 32
    .workgroup_processor_mode: 1
  - .args:
      - .address_space:  global
        .offset:         0
        .size:           8
        .value_kind:     global_buffer
      - .offset:         8
        .size:           4
        .value_kind:     by_value
      - .offset:         12
        .size:           8
        .value_kind:     by_value
    .group_segment_fixed_size: 0
    .kernarg_segment_align: 8
    .kernarg_segment_size: 20
    .language:       OpenCL C
    .language_version:
      - 2
      - 0
    .max_flat_workgroup_size: 32
    .name:           _ZN9rocsolver6v33100L6iota_nI19rocblas_complex_numIfEEEvPT_jS4_
    .private_segment_fixed_size: 0
    .sgpr_count:     6
    .sgpr_spill_count: 0
    .symbol:         _ZN9rocsolver6v33100L6iota_nI19rocblas_complex_numIfEEEvPT_jS4_.kd
    .uniform_work_group_size: 1
    .uses_dynamic_stack: false
    .vgpr_count:     3
    .vgpr_spill_count: 0
    .wavefront_size: 32
    .workgroup_processor_mode: 1
  - .args:
      - .offset:         0
        .size:           4
        .value_kind:     by_value
      - .offset:         4
        .size:           4
        .value_kind:     by_value
      - .address_space:  global
        .offset:         8
        .size:           8
        .value_kind:     global_buffer
      - .offset:         16
        .size:           4
        .value_kind:     by_value
      - .offset:         20
        .size:           4
        .value_kind:     by_value
      - .offset:         24
        .size:           8
        .value_kind:     by_value
      - .offset:         32
        .size:           4
        .value_kind:     by_value
      - .offset:         40
        .size:           4
        .value_kind:     hidden_block_count_x
      - .offset:         44
        .size:           4
        .value_kind:     hidden_block_count_y
      - .offset:         48
        .size:           4
        .value_kind:     hidden_block_count_z
      - .offset:         52
        .size:           2
        .value_kind:     hidden_group_size_x
      - .offset:         54
        .size:           2
        .value_kind:     hidden_group_size_y
      - .offset:         56
        .size:           2
        .value_kind:     hidden_group_size_z
      - .offset:         58
        .size:           2
        .value_kind:     hidden_remainder_x
      - .offset:         60
        .size:           2
        .value_kind:     hidden_remainder_y
      - .offset:         62
        .size:           2
        .value_kind:     hidden_remainder_z
      - .offset:         80
        .size:           8
        .value_kind:     hidden_global_offset_x
      - .offset:         88
        .size:           8
        .value_kind:     hidden_global_offset_y
      - .offset:         96
        .size:           8
        .value_kind:     hidden_global_offset_z
      - .offset:         104
        .size:           2
        .value_kind:     hidden_grid_dims
    .group_segment_fixed_size: 0
    .kernarg_segment_align: 8
    .kernarg_segment_size: 296
    .language:       OpenCL C
    .language_version:
      - 2
      - 0
    .max_flat_workgroup_size: 1024
    .name:           _ZN9rocsolver6v33100L8set_zeroI19rocblas_complex_numIfEPS3_EEviiT0_iil13rocblas_fill_
    .private_segment_fixed_size: 0
    .sgpr_count:     18
    .sgpr_spill_count: 0
    .symbol:         _ZN9rocsolver6v33100L8set_zeroI19rocblas_complex_numIfEPS3_EEviiT0_iil13rocblas_fill_.kd
    .uniform_work_group_size: 1
    .uses_dynamic_stack: false
    .vgpr_count:     5
    .vgpr_spill_count: 0
    .wavefront_size: 32
    .workgroup_processor_mode: 1
  - .args:
      - .offset:         0
        .size:           4
        .value_kind:     by_value
      - .offset:         4
        .size:           4
        .value_kind:     by_value
      - .address_space:  global
        .offset:         8
        .size:           8
        .value_kind:     global_buffer
      - .offset:         16
        .size:           8
        .value_kind:     by_value
      - .offset:         24
        .size:           4
        .value_kind:     by_value
      - .offset:         32
        .size:           8
        .value_kind:     by_value
      - .address_space:  global
        .offset:         40
        .size:           8
        .value_kind:     global_buffer
      - .offset:         48
        .size:           8
        .value_kind:     by_value
      - .address_space:  global
        .offset:         56
        .size:           8
        .value_kind:     global_buffer
      - .offset:         64
        .size:           8
        .value_kind:     by_value
    .group_segment_fixed_size: 0
    .kernarg_segment_align: 8
    .kernarg_segment_size: 72
    .language:       OpenCL C
    .language_version:
      - 2
      - 0
    .max_flat_workgroup_size: 256
    .name:           _ZN9rocsolver6v33100L18geqr2_kernel_smallILi256E19rocblas_complex_numIfEifPS3_EEvT1_S5_T3_lS5_lPT2_lPT0_l
    .private_segment_fixed_size: 0
    .sgpr_count:     39
    .sgpr_spill_count: 0
    .symbol:         _ZN9rocsolver6v33100L18geqr2_kernel_smallILi256E19rocblas_complex_numIfEifPS3_EEvT1_S5_T3_lS5_lPT2_lPT0_l.kd
    .uniform_work_group_size: 1
    .uses_dynamic_stack: false
    .vgpr_count:     40
    .vgpr_spill_count: 0
    .wavefront_size: 32
    .workgroup_processor_mode: 1
  - .args:
      - .address_space:  global
        .offset:         0
        .size:           8
        .value_kind:     global_buffer
      - .offset:         8
        .size:           8
        .value_kind:     by_value
      - .offset:         16
        .size:           4
        .value_kind:     by_value
      - .offset:         20
        .size:           4
        .value_kind:     by_value
      - .offset:         24
        .size:           4
        .value_kind:     hidden_block_count_x
      - .offset:         28
        .size:           4
        .value_kind:     hidden_block_count_y
      - .offset:         32
        .size:           4
        .value_kind:     hidden_block_count_z
      - .offset:         36
        .size:           2
        .value_kind:     hidden_group_size_x
      - .offset:         38
        .size:           2
        .value_kind:     hidden_group_size_y
      - .offset:         40
        .size:           2
        .value_kind:     hidden_group_size_z
      - .offset:         42
        .size:           2
        .value_kind:     hidden_remainder_x
      - .offset:         44
        .size:           2
        .value_kind:     hidden_remainder_y
      - .offset:         46
        .size:           2
        .value_kind:     hidden_remainder_z
      - .offset:         64
        .size:           8
        .value_kind:     hidden_global_offset_x
      - .offset:         72
        .size:           8
        .value_kind:     hidden_global_offset_y
      - .offset:         80
        .size:           8
        .value_kind:     hidden_global_offset_z
      - .offset:         88
        .size:           2
        .value_kind:     hidden_grid_dims
    .group_segment_fixed_size: 0
    .kernarg_segment_align: 8
    .kernarg_segment_size: 280
    .language:       OpenCL C
    .language_version:
      - 2
      - 0
    .max_flat_workgroup_size: 1024
    .name:           _ZN9rocsolver6v33100L16reset_batch_infoI19rocblas_complex_numIfEiiPS3_EEvT2_lT0_T1_
    .private_segment_fixed_size: 0
    .sgpr_count:     18
    .sgpr_spill_count: 0
    .symbol:         _ZN9rocsolver6v33100L16reset_batch_infoI19rocblas_complex_numIfEiiPS3_EEvT2_lT0_T1_.kd
    .uniform_work_group_size: 1
    .uses_dynamic_stack: false
    .vgpr_count:     4
    .vgpr_spill_count: 0
    .wavefront_size: 32
    .workgroup_processor_mode: 1
  - .args:
      - .address_space:  global
        .offset:         0
        .size:           8
        .value_kind:     global_buffer
      - .offset:         8
        .size:           8
        .value_kind:     by_value
      - .offset:         16
        .size:           8
        .value_kind:     by_value
      - .address_space:  global
        .offset:         24
        .size:           8
        .value_kind:     global_buffer
      - .offset:         32
        .size:           8
        .value_kind:     by_value
      - .offset:         40
        .size:           4
        .value_kind:     by_value
      - .offset:         48
        .size:           8
        .value_kind:     by_value
      - .offset:         56
        .size:           4
        .value_kind:     by_value
      - .offset:         60
        .size:           1
        .value_kind:     by_value
      - .offset:         64
        .size:           4
        .value_kind:     hidden_block_count_x
      - .offset:         68
        .size:           4
        .value_kind:     hidden_block_count_y
      - .offset:         72
        .size:           4
        .value_kind:     hidden_block_count_z
      - .offset:         76
        .size:           2
        .value_kind:     hidden_group_size_x
      - .offset:         78
        .size:           2
        .value_kind:     hidden_group_size_y
      - .offset:         80
        .size:           2
        .value_kind:     hidden_group_size_z
      - .offset:         82
        .size:           2
        .value_kind:     hidden_remainder_x
      - .offset:         84
        .size:           2
        .value_kind:     hidden_remainder_y
      - .offset:         86
        .size:           2
        .value_kind:     hidden_remainder_z
      - .offset:         104
        .size:           8
        .value_kind:     hidden_global_offset_x
      - .offset:         112
        .size:           8
        .value_kind:     hidden_global_offset_y
      - .offset:         120
        .size:           8
        .value_kind:     hidden_global_offset_z
      - .offset:         128
        .size:           2
        .value_kind:     hidden_grid_dims
    .group_segment_fixed_size: 0
    .kernarg_segment_align: 8
    .kernarg_segment_size: 320
    .language:       OpenCL C
    .language_version:
      - 2
      - 0
    .max_flat_workgroup_size: 1024
    .name:           _ZN9rocsolver6v33100L8set_diagI19rocblas_complex_numIfEifPS3_TnNSt9enable_ifIXaa18rocblas_is_complexIT_Ent18rocblas_is_complexIT1_EEiE4typeELi0EEEvPS7_llT2_lT0_lSC_b
    .private_segment_fixed_size: 0
    .sgpr_count:     19
    .sgpr_spill_count: 0
    .symbol:         _ZN9rocsolver6v33100L8set_diagI19rocblas_complex_numIfEifPS3_TnNSt9enable_ifIXaa18rocblas_is_complexIT_Ent18rocblas_is_complexIT1_EEiE4typeELi0EEEvPS7_llT2_lT0_lSC_b.kd
    .uniform_work_group_size: 1
    .uses_dynamic_stack: false
    .vgpr_count:     6
    .vgpr_spill_count: 0
    .wavefront_size: 32
    .workgroup_processor_mode: 1
  - .args:
      - .address_space:  global
        .offset:         0
        .size:           8
        .value_kind:     global_buffer
      - .offset:         8
        .size:           8
        .value_kind:     by_value
      - .address_space:  global
        .offset:         16
        .size:           8
        .value_kind:     global_buffer
      - .address_space:  global
        .offset:         24
        .size:           8
        .value_kind:     global_buffer
      - .offset:         32
        .size:           8
        .value_kind:     by_value
      - .offset:         40
        .size:           8
        .value_kind:     by_value
      - .address_space:  global
        .offset:         48
        .size:           8
        .value_kind:     global_buffer
      - .offset:         56
        .size:           8
        .value_kind:     by_value
      - .offset:         64
        .size:           8
        .value_kind:     by_value
    .group_segment_fixed_size: 0
    .kernarg_segment_align: 8
    .kernarg_segment_size: 72
    .language:       OpenCL C
    .language_version:
      - 2
      - 0
    .max_flat_workgroup_size: 1024
    .name:           _ZN9rocsolver6v33100L11set_taubetaI19rocblas_complex_numIfEifPS3_EEvPT_lS6_T2_llPT1_ll
    .private_segment_fixed_size: 0
    .sgpr_count:     24
    .sgpr_spill_count: 0
    .symbol:         _ZN9rocsolver6v33100L11set_taubetaI19rocblas_complex_numIfEifPS3_EEvPT_lS6_T2_llPT1_ll.kd
    .uniform_work_group_size: 1
    .uses_dynamic_stack: false
    .vgpr_count:     24
    .vgpr_spill_count: 0
    .wavefront_size: 32
    .workgroup_processor_mode: 1
  - .args:
      - .offset:         0
        .size:           4
        .value_kind:     by_value
      - .offset:         4
        .size:           4
        .value_kind:     by_value
      - .address_space:  global
        .offset:         8
        .size:           8
        .value_kind:     global_buffer
      - .offset:         16
        .size:           8
        .value_kind:     by_value
      - .offset:         24
        .size:           4
        .value_kind:     by_value
      - .offset:         32
        .size:           8
        .value_kind:     by_value
      - .offset:         40
        .size:           4
        .value_kind:     hidden_block_count_x
      - .offset:         44
        .size:           4
        .value_kind:     hidden_block_count_y
      - .offset:         48
        .size:           4
        .value_kind:     hidden_block_count_z
      - .offset:         52
        .size:           2
        .value_kind:     hidden_group_size_x
      - .offset:         54
        .size:           2
        .value_kind:     hidden_group_size_y
      - .offset:         56
        .size:           2
        .value_kind:     hidden_group_size_z
      - .offset:         58
        .size:           2
        .value_kind:     hidden_remainder_x
      - .offset:         60
        .size:           2
        .value_kind:     hidden_remainder_y
      - .offset:         62
        .size:           2
        .value_kind:     hidden_remainder_z
      - .offset:         80
        .size:           8
        .value_kind:     hidden_global_offset_x
      - .offset:         88
        .size:           8
        .value_kind:     hidden_global_offset_y
      - .offset:         96
        .size:           8
        .value_kind:     hidden_global_offset_z
      - .offset:         104
        .size:           2
        .value_kind:     hidden_grid_dims
    .group_segment_fixed_size: 0
    .kernarg_segment_align: 8
    .kernarg_segment_size: 296
    .language:       OpenCL C
    .language_version:
      - 2
      - 0
    .max_flat_workgroup_size: 1024
    .name:           _ZN9rocsolver6v33100L13conj_in_placeI19rocblas_complex_numIfEiPS3_TnNSt9enable_ifIX18rocblas_is_complexIT_EEiE4typeELi0EEEvT0_S9_T1_lS9_l
    .private_segment_fixed_size: 0
    .sgpr_count:     18
    .sgpr_spill_count: 0
    .symbol:         _ZN9rocsolver6v33100L13conj_in_placeI19rocblas_complex_numIfEiPS3_TnNSt9enable_ifIX18rocblas_is_complexIT_EEiE4typeELi0EEEvT0_S9_T1_lS9_l.kd
    .uniform_work_group_size: 1
    .uses_dynamic_stack: false
    .vgpr_count:     7
    .vgpr_spill_count: 0
    .wavefront_size: 32
    .workgroup_processor_mode: 1
  - .args:
      - .offset:         0
        .size:           4
        .value_kind:     by_value
      - .offset:         4
        .size:           4
        .value_kind:     by_value
      - .address_space:  global
        .offset:         8
        .size:           8
        .value_kind:     global_buffer
      - .offset:         16
        .size:           8
        .value_kind:     by_value
      - .offset:         24
        .size:           4
        .value_kind:     by_value
      - .offset:         32
        .size:           8
        .value_kind:     by_value
      - .address_space:  global
        .offset:         40
        .size:           8
        .value_kind:     global_buffer
      - .offset:         48
        .size:           8
        .value_kind:     by_value
      - .address_space:  global
        .offset:         56
        .size:           8
        .value_kind:     global_buffer
      - .offset:         64
        .size:           8
        .value_kind:     by_value
      - .offset:         72
        .size:           4
        .value_kind:     by_value
      - .offset:         80
        .size:           8
        .value_kind:     by_value
    .group_segment_fixed_size: 0
    .kernarg_segment_align: 8
    .kernarg_segment_size: 88
    .language:       OpenCL C
    .language_version:
      - 2
      - 0
    .max_flat_workgroup_size: 1024
    .name:           _ZN9rocsolver6v33100L16larf_left_kernelILi1024E19rocblas_complex_numIfEiPS3_EEvT1_S5_T2_lS5_lPKT0_lS6_lS5_l
    .private_segment_fixed_size: 0
    .sgpr_count:     33
    .sgpr_spill_count: 0
    .symbol:         _ZN9rocsolver6v33100L16larf_left_kernelILi1024E19rocblas_complex_numIfEiPS3_EEvT1_S5_T2_lS5_lPKT0_lS6_lS5_l.kd
    .uniform_work_group_size: 1
    .uses_dynamic_stack: false
    .vgpr_count:     17
    .vgpr_spill_count: 0
    .wavefront_size: 32
    .workgroup_processor_mode: 1
  - .args:
      - .offset:         0
        .size:           4
        .value_kind:     by_value
      - .offset:         4
        .size:           4
        .value_kind:     by_value
      - .address_space:  global
        .offset:         8
        .size:           8
        .value_kind:     global_buffer
      - .offset:         16
        .size:           8
        .value_kind:     by_value
      - .offset:         24
        .size:           4
        .value_kind:     by_value
      - .offset:         32
        .size:           8
        .value_kind:     by_value
      - .address_space:  global
        .offset:         40
        .size:           8
        .value_kind:     global_buffer
      - .offset:         48
        .size:           8
        .value_kind:     by_value
      - .address_space:  global
        .offset:         56
        .size:           8
        .value_kind:     global_buffer
      - .offset:         64
        .size:           8
        .value_kind:     by_value
      - .offset:         72
        .size:           4
        .value_kind:     by_value
      - .offset:         80
        .size:           8
        .value_kind:     by_value
    .group_segment_fixed_size: 0
    .kernarg_segment_align: 8
    .kernarg_segment_size: 88
    .language:       OpenCL C
    .language_version:
      - 2
      - 0
    .max_flat_workgroup_size: 1024
    .name:           _ZN9rocsolver6v33100L17larf_right_kernelILi1024E19rocblas_complex_numIfEiPS3_EEvT1_S5_T2_lS5_lPKT0_lS6_lS5_l
    .private_segment_fixed_size: 0
    .sgpr_count:     37
    .sgpr_spill_count: 0
    .symbol:         _ZN9rocsolver6v33100L17larf_right_kernelILi1024E19rocblas_complex_numIfEiPS3_EEvT1_S5_T2_lS5_lPKT0_lS6_lS5_l.kd
    .uniform_work_group_size: 1
    .uses_dynamic_stack: false
    .vgpr_count:     17
    .vgpr_spill_count: 0
    .wavefront_size: 32
    .workgroup_processor_mode: 1
  - .args:
      - .address_space:  global
        .offset:         0
        .size:           8
        .value_kind:     global_buffer
      - .offset:         8
        .size:           8
        .value_kind:     by_value
      - .offset:         16
        .size:           8
        .value_kind:     by_value
      - .address_space:  global
        .offset:         24
        .size:           8
        .value_kind:     global_buffer
      - .offset:         32
        .size:           8
        .value_kind:     by_value
      - .offset:         40
        .size:           4
        .value_kind:     by_value
      - .offset:         48
        .size:           8
        .value_kind:     by_value
      - .offset:         56
        .size:           4
        .value_kind:     by_value
      - .offset:         64
        .size:           4
        .value_kind:     hidden_block_count_x
      - .offset:         68
        .size:           4
        .value_kind:     hidden_block_count_y
      - .offset:         72
        .size:           4
        .value_kind:     hidden_block_count_z
      - .offset:         76
        .size:           2
        .value_kind:     hidden_group_size_x
      - .offset:         78
        .size:           2
        .value_kind:     hidden_group_size_y
      - .offset:         80
        .size:           2
        .value_kind:     hidden_group_size_z
      - .offset:         82
        .size:           2
        .value_kind:     hidden_remainder_x
      - .offset:         84
        .size:           2
        .value_kind:     hidden_remainder_y
      - .offset:         86
        .size:           2
        .value_kind:     hidden_remainder_z
      - .offset:         104
        .size:           8
        .value_kind:     hidden_global_offset_x
      - .offset:         112
        .size:           8
        .value_kind:     hidden_global_offset_y
      - .offset:         120
        .size:           8
        .value_kind:     hidden_global_offset_z
      - .offset:         128
        .size:           2
        .value_kind:     hidden_grid_dims
    .group_segment_fixed_size: 0
    .kernarg_segment_align: 8
    .kernarg_segment_size: 320
    .language:       OpenCL C
    .language_version:
      - 2
      - 0
    .max_flat_workgroup_size: 1024
    .name:           _ZN9rocsolver6v33100L12restore_diagI19rocblas_complex_numIfEifPS3_EEvPT1_llT2_lT0_lS8_
    .private_segment_fixed_size: 0
    .sgpr_count:     19
    .sgpr_spill_count: 0
    .symbol:         _ZN9rocsolver6v33100L12restore_diagI19rocblas_complex_numIfEifPS3_EEvPT1_llT2_lT0_lS8_.kd
    .uniform_work_group_size: 1
    .uses_dynamic_stack: false
    .vgpr_count:     5
    .vgpr_spill_count: 0
    .wavefront_size: 32
    .workgroup_processor_mode: 1
  - .args:
      - .offset:         0
        .size:           4
        .value_kind:     by_value
      - .offset:         4
        .size:           4
        .value_kind:     by_value
      - .address_space:  global
        .offset:         8
        .size:           8
        .value_kind:     global_buffer
      - .offset:         16
        .size:           4
        .value_kind:     by_value
      - .offset:         20
        .size:           4
        .value_kind:     by_value
      - .offset:         24
        .size:           8
        .value_kind:     by_value
      - .address_space:  global
        .offset:         32
        .size:           8
        .value_kind:     global_buffer
      - .offset:         40
        .size:           8
        .value_kind:     by_value
      - .address_space:  global
        .offset:         48
        .size:           8
        .value_kind:     global_buffer
      - .offset:         56
        .size:           4
        .value_kind:     by_value
      - .offset:         64
        .size:           8
        .value_kind:     by_value
      - .offset:         72
        .size:           4
        .value_kind:     by_value
      - .offset:         76
        .size:           4
        .value_kind:     by_value
      - .offset:         80
        .size:           1
        .value_kind:     by_value
      - .offset:         88
        .size:           4
        .value_kind:     hidden_block_count_x
      - .offset:         92
        .size:           4
        .value_kind:     hidden_block_count_y
      - .offset:         96
        .size:           4
        .value_kind:     hidden_block_count_z
      - .offset:         100
        .size:           2
        .value_kind:     hidden_group_size_x
      - .offset:         102
        .size:           2
        .value_kind:     hidden_group_size_y
      - .offset:         104
        .size:           2
        .value_kind:     hidden_group_size_z
      - .offset:         106
        .size:           2
        .value_kind:     hidden_remainder_x
      - .offset:         108
        .size:           2
        .value_kind:     hidden_remainder_y
      - .offset:         110
        .size:           2
        .value_kind:     hidden_remainder_z
      - .offset:         128
        .size:           8
        .value_kind:     hidden_global_offset_x
      - .offset:         136
        .size:           8
        .value_kind:     hidden_global_offset_y
      - .offset:         144
        .size:           8
        .value_kind:     hidden_global_offset_z
      - .offset:         152
        .size:           2
        .value_kind:     hidden_grid_dims
    .group_segment_fixed_size: 0
    .kernarg_segment_align: 8
    .kernarg_segment_size: 344
    .language:       OpenCL C
    .language_version:
      - 2
      - 0
    .max_flat_workgroup_size: 1024
    .name:           _ZN9rocsolver6v33100L14set_triangularI19rocblas_complex_numIfEPS3_TnNSt9enable_ifIX18rocblas_is_complexIT_EEiE4typeELi0EEEviiT0_iilPS6_lSA_il15rocblas_direct_15rocblas_storev_b
    .private_segment_fixed_size: 0
    .sgpr_count:     24
    .sgpr_spill_count: 0
    .symbol:         _ZN9rocsolver6v33100L14set_triangularI19rocblas_complex_numIfEPS3_TnNSt9enable_ifIX18rocblas_is_complexIT_EEiE4typeELi0EEEviiT0_iilPS6_lSA_il15rocblas_direct_15rocblas_storev_b.kd
    .uniform_work_group_size: 1
    .uses_dynamic_stack: false
    .vgpr_count:     16
    .vgpr_spill_count: 0
    .wavefront_size: 32
    .workgroup_processor_mode: 1
  - .args:
      - .offset:         0
        .size:           4
        .value_kind:     by_value
      - .address_space:  global
        .offset:         8
        .size:           8
        .value_kind:     global_buffer
      - .offset:         16
        .size:           8
        .value_kind:     by_value
      - .offset:         24
        .size:           4
        .value_kind:     hidden_block_count_x
      - .offset:         28
        .size:           4
        .value_kind:     hidden_block_count_y
      - .offset:         32
        .size:           4
        .value_kind:     hidden_block_count_z
      - .offset:         36
        .size:           2
        .value_kind:     hidden_group_size_x
      - .offset:         38
        .size:           2
        .value_kind:     hidden_group_size_y
      - .offset:         40
        .size:           2
        .value_kind:     hidden_group_size_z
      - .offset:         42
        .size:           2
        .value_kind:     hidden_remainder_x
      - .offset:         44
        .size:           2
        .value_kind:     hidden_remainder_y
      - .offset:         46
        .size:           2
        .value_kind:     hidden_remainder_z
      - .offset:         64
        .size:           8
        .value_kind:     hidden_global_offset_x
      - .offset:         72
        .size:           8
        .value_kind:     hidden_global_offset_y
      - .offset:         80
        .size:           8
        .value_kind:     hidden_global_offset_z
      - .offset:         88
        .size:           2
        .value_kind:     hidden_grid_dims
    .group_segment_fixed_size: 0
    .kernarg_segment_align: 8
    .kernarg_segment_size: 280
    .language:       OpenCL C
    .language_version:
      - 2
      - 0
    .max_flat_workgroup_size: 1024
    .name:           _ZN9rocsolver6v33100L7set_tauI19rocblas_complex_numIfEEEviPT_l
    .private_segment_fixed_size: 0
    .sgpr_count:     18
    .sgpr_spill_count: 0
    .symbol:         _ZN9rocsolver6v33100L7set_tauI19rocblas_complex_numIfEEEviPT_l.kd
    .uniform_work_group_size: 1
    .uses_dynamic_stack: false
    .vgpr_count:     4
    .vgpr_spill_count: 0
    .wavefront_size: 32
    .workgroup_processor_mode: 1
  - .args:
      - .offset:         0
        .size:           4
        .value_kind:     by_value
      - .offset:         4
        .size:           4
        .value_kind:     by_value
      - .offset:         8
        .size:           4
        .value_kind:     by_value
      - .address_space:  global
        .offset:         16
        .size:           8
        .value_kind:     global_buffer
      - .offset:         24
        .size:           4
        .value_kind:     by_value
      - .offset:         28
        .size:           4
        .value_kind:     by_value
      - .offset:         32
        .size:           8
        .value_kind:     by_value
      - .address_space:  global
        .offset:         40
        .size:           8
        .value_kind:     global_buffer
      - .offset:         48
        .size:           8
        .value_kind:     by_value
      - .address_space:  global
        .offset:         56
        .size:           8
        .value_kind:     global_buffer
      - .offset:         64
        .size:           4
        .value_kind:     by_value
      - .offset:         72
        .size:           8
        .value_kind:     by_value
      - .offset:         80
        .size:           4
        .value_kind:     hidden_block_count_x
      - .offset:         84
        .size:           4
        .value_kind:     hidden_block_count_y
      - .offset:         88
        .size:           4
        .value_kind:     hidden_block_count_z
      - .offset:         92
        .size:           2
        .value_kind:     hidden_group_size_x
      - .offset:         94
        .size:           2
        .value_kind:     hidden_group_size_y
      - .offset:         96
        .size:           2
        .value_kind:     hidden_group_size_z
      - .offset:         98
        .size:           2
        .value_kind:     hidden_remainder_x
      - .offset:         100
        .size:           2
        .value_kind:     hidden_remainder_y
      - .offset:         102
        .size:           2
        .value_kind:     hidden_remainder_z
      - .offset:         120
        .size:           8
        .value_kind:     hidden_global_offset_x
      - .offset:         128
        .size:           8
        .value_kind:     hidden_global_offset_y
      - .offset:         136
        .size:           8
        .value_kind:     hidden_global_offset_z
      - .offset:         144
        .size:           2
        .value_kind:     hidden_grid_dims
      - .offset:         200
        .size:           4
        .value_kind:     hidden_dynamic_lds_size
    .group_segment_fixed_size: 0
    .kernarg_segment_align: 8
    .kernarg_segment_size: 336
    .language:       OpenCL C
    .language_version:
      - 2
      - 0
    .max_flat_workgroup_size: 1024
    .name:           _ZN9rocsolver6v33100L20larft_kernel_forwardI19rocblas_complex_numIfEPS3_EEv15rocblas_storev_iiT0_iilPT_lS8_il
    .private_segment_fixed_size: 0
    .sgpr_count:     46
    .sgpr_spill_count: 0
    .symbol:         _ZN9rocsolver6v33100L20larft_kernel_forwardI19rocblas_complex_numIfEPS3_EEv15rocblas_storev_iiT0_iilPT_lS8_il.kd
    .uniform_work_group_size: 1
    .uses_dynamic_stack: false
    .vgpr_count:     20
    .vgpr_spill_count: 0
    .wavefront_size: 32
    .workgroup_processor_mode: 1
  - .args:
      - .offset:         0
        .size:           4
        .value_kind:     by_value
      - .offset:         4
        .size:           4
        .value_kind:     by_value
      - .offset:         8
        .size:           4
        .value_kind:     by_value
      - .address_space:  global
        .offset:         16
        .size:           8
        .value_kind:     global_buffer
      - .offset:         24
        .size:           4
        .value_kind:     by_value
      - .offset:         28
        .size:           4
        .value_kind:     by_value
      - .offset:         32
        .size:           8
        .value_kind:     by_value
      - .address_space:  global
        .offset:         40
        .size:           8
        .value_kind:     global_buffer
      - .offset:         48
        .size:           8
        .value_kind:     by_value
      - .address_space:  global
        .offset:         56
        .size:           8
        .value_kind:     global_buffer
      - .offset:         64
        .size:           4
        .value_kind:     by_value
      - .offset:         72
        .size:           8
        .value_kind:     by_value
      - .offset:         80
        .size:           4
        .value_kind:     hidden_block_count_x
      - .offset:         84
        .size:           4
        .value_kind:     hidden_block_count_y
      - .offset:         88
        .size:           4
        .value_kind:     hidden_block_count_z
      - .offset:         92
        .size:           2
        .value_kind:     hidden_group_size_x
      - .offset:         94
        .size:           2
        .value_kind:     hidden_group_size_y
      - .offset:         96
        .size:           2
        .value_kind:     hidden_group_size_z
      - .offset:         98
        .size:           2
        .value_kind:     hidden_remainder_x
      - .offset:         100
        .size:           2
        .value_kind:     hidden_remainder_y
      - .offset:         102
        .size:           2
        .value_kind:     hidden_remainder_z
      - .offset:         120
        .size:           8
        .value_kind:     hidden_global_offset_x
      - .offset:         128
        .size:           8
        .value_kind:     hidden_global_offset_y
      - .offset:         136
        .size:           8
        .value_kind:     hidden_global_offset_z
      - .offset:         144
        .size:           2
        .value_kind:     hidden_grid_dims
      - .offset:         200
        .size:           4
        .value_kind:     hidden_dynamic_lds_size
    .group_segment_fixed_size: 0
    .kernarg_segment_align: 8
    .kernarg_segment_size: 336
    .language:       OpenCL C
    .language_version:
      - 2
      - 0
    .max_flat_workgroup_size: 1024
    .name:           _ZN9rocsolver6v33100L21larft_kernel_backwardI19rocblas_complex_numIfEPS3_EEv15rocblas_storev_iiT0_iilPT_lS8_il
    .private_segment_fixed_size: 0
    .sgpr_count:     48
    .sgpr_spill_count: 0
    .symbol:         _ZN9rocsolver6v33100L21larft_kernel_backwardI19rocblas_complex_numIfEPS3_EEv15rocblas_storev_iiT0_iilPT_lS8_il.kd
    .uniform_work_group_size: 1
    .uses_dynamic_stack: false
    .vgpr_count:     17
    .vgpr_spill_count: 0
    .wavefront_size: 32
    .workgroup_processor_mode: 1
  - .args:
      - .offset:         0
        .size:           4
        .value_kind:     by_value
      - .offset:         4
        .size:           4
        .value_kind:     by_value
      - .address_space:  global
        .offset:         8
        .size:           8
        .value_kind:     global_buffer
      - .offset:         16
        .size:           4
        .value_kind:     by_value
      - .offset:         20
        .size:           4
        .value_kind:     by_value
      - .offset:         24
        .size:           8
        .value_kind:     by_value
      - .address_space:  global
        .offset:         32
        .size:           8
        .value_kind:     global_buffer
      - .offset:         40
        .size:           4
        .value_kind:     hidden_block_count_x
      - .offset:         44
        .size:           4
        .value_kind:     hidden_block_count_y
      - .offset:         48
        .size:           4
        .value_kind:     hidden_block_count_z
      - .offset:         52
        .size:           2
        .value_kind:     hidden_group_size_x
      - .offset:         54
        .size:           2
        .value_kind:     hidden_group_size_y
      - .offset:         56
        .size:           2
        .value_kind:     hidden_group_size_z
      - .offset:         58
        .size:           2
        .value_kind:     hidden_remainder_x
      - .offset:         60
        .size:           2
        .value_kind:     hidden_remainder_y
      - .offset:         62
        .size:           2
        .value_kind:     hidden_remainder_z
      - .offset:         80
        .size:           8
        .value_kind:     hidden_global_offset_x
      - .offset:         88
        .size:           8
        .value_kind:     hidden_global_offset_y
      - .offset:         96
        .size:           8
        .value_kind:     hidden_global_offset_z
      - .offset:         104
        .size:           2
        .value_kind:     hidden_grid_dims
    .group_segment_fixed_size: 0
    .kernarg_segment_align: 8
    .kernarg_segment_size: 296
    .language:       OpenCL C
    .language_version:
      - 2
      - 0
    .max_flat_workgroup_size: 1024
    .name:           _ZN9rocsolver6v33100L9copymatA1I19rocblas_complex_numIfEPS3_EEviiT0_iilPT_
    .private_segment_fixed_size: 0
    .sgpr_count:     18
    .sgpr_spill_count: 0
    .symbol:         _ZN9rocsolver6v33100L9copymatA1I19rocblas_complex_numIfEPS3_EEviiT0_iilPT_.kd
    .uniform_work_group_size: 1
    .uses_dynamic_stack: false
    .vgpr_count:     8
    .vgpr_spill_count: 0
    .wavefront_size: 32
    .workgroup_processor_mode: 1
  - .args:
      - .offset:         0
        .size:           4
        .value_kind:     by_value
      - .offset:         4
        .size:           4
        .value_kind:     by_value
      - .address_space:  global
        .offset:         8
        .size:           8
        .value_kind:     global_buffer
      - .offset:         16
        .size:           4
        .value_kind:     by_value
      - .offset:         20
        .size:           4
        .value_kind:     by_value
      - .offset:         24
        .size:           8
        .value_kind:     by_value
      - .address_space:  global
        .offset:         32
        .size:           8
        .value_kind:     global_buffer
      - .offset:         40
        .size:           4
        .value_kind:     hidden_block_count_x
      - .offset:         44
        .size:           4
        .value_kind:     hidden_block_count_y
      - .offset:         48
        .size:           4
        .value_kind:     hidden_block_count_z
      - .offset:         52
        .size:           2
        .value_kind:     hidden_group_size_x
      - .offset:         54
        .size:           2
        .value_kind:     hidden_group_size_y
      - .offset:         56
        .size:           2
        .value_kind:     hidden_group_size_z
      - .offset:         58
        .size:           2
        .value_kind:     hidden_remainder_x
      - .offset:         60
        .size:           2
        .value_kind:     hidden_remainder_y
      - .offset:         62
        .size:           2
        .value_kind:     hidden_remainder_z
      - .offset:         80
        .size:           8
        .value_kind:     hidden_global_offset_x
      - .offset:         88
        .size:           8
        .value_kind:     hidden_global_offset_y
      - .offset:         96
        .size:           8
        .value_kind:     hidden_global_offset_z
      - .offset:         104
        .size:           2
        .value_kind:     hidden_grid_dims
    .group_segment_fixed_size: 0
    .kernarg_segment_align: 8
    .kernarg_segment_size: 296
    .language:       OpenCL C
    .language_version:
      - 2
      - 0
    .max_flat_workgroup_size: 1024
    .name:           _ZN9rocsolver6v33100L8addmatA1I19rocblas_complex_numIfEPS3_EEviiT0_iilPT_
    .private_segment_fixed_size: 0
    .sgpr_count:     18
    .sgpr_spill_count: 0
    .symbol:         _ZN9rocsolver6v33100L8addmatA1I19rocblas_complex_numIfEPS3_EEviiT0_iilPT_.kd
    .uniform_work_group_size: 1
    .uses_dynamic_stack: false
    .vgpr_count:     6
    .vgpr_spill_count: 0
    .wavefront_size: 32
    .workgroup_processor_mode: 1
  - .args:
      - .address_space:  global
        .offset:         0
        .size:           8
        .value_kind:     global_buffer
      - .offset:         8
        .size:           8
        .value_kind:     by_value
      - .offset:         16
        .size:           8
        .value_kind:     by_value
      - .address_space:  global
        .offset:         24
        .size:           8
        .value_kind:     global_buffer
      - .offset:         32
        .size:           8
        .value_kind:     by_value
      - .offset:         40
        .size:           4
        .value_kind:     by_value
      - .offset:         48
        .size:           8
        .value_kind:     by_value
      - .offset:         56
        .size:           4
        .value_kind:     by_value
      - .offset:         60
        .size:           1
        .value_kind:     by_value
      - .offset:         64
        .size:           4
        .value_kind:     hidden_block_count_x
      - .offset:         68
        .size:           4
        .value_kind:     hidden_block_count_y
      - .offset:         72
        .size:           4
        .value_kind:     hidden_block_count_z
      - .offset:         76
        .size:           2
        .value_kind:     hidden_group_size_x
      - .offset:         78
        .size:           2
        .value_kind:     hidden_group_size_y
      - .offset:         80
        .size:           2
        .value_kind:     hidden_group_size_z
      - .offset:         82
        .size:           2
        .value_kind:     hidden_remainder_x
      - .offset:         84
        .size:           2
        .value_kind:     hidden_remainder_y
      - .offset:         86
        .size:           2
        .value_kind:     hidden_remainder_z
      - .offset:         104
        .size:           8
        .value_kind:     hidden_global_offset_x
      - .offset:         112
        .size:           8
        .value_kind:     hidden_global_offset_y
      - .offset:         120
        .size:           8
        .value_kind:     hidden_global_offset_z
      - .offset:         128
        .size:           2
        .value_kind:     hidden_grid_dims
    .group_segment_fixed_size: 0
    .kernarg_segment_align: 8
    .kernarg_segment_size: 320
    .language:       OpenCL C
    .language_version:
      - 2
      - 0
    .max_flat_workgroup_size: 1024
    .name:           _ZN9rocsolver6v33100L8set_diagI19rocblas_complex_numIfEiS3_PS3_TnNSt9enable_ifIXoont18rocblas_is_complexIT_E18rocblas_is_complexIT1_EEiE4typeELi0EEEvPS7_llT2_lT0_lSC_b
    .private_segment_fixed_size: 0
    .sgpr_count:     19
    .sgpr_spill_count: 0
    .symbol:         _ZN9rocsolver6v33100L8set_diagI19rocblas_complex_numIfEiS3_PS3_TnNSt9enable_ifIXoont18rocblas_is_complexIT_E18rocblas_is_complexIT1_EEiE4typeELi0EEEvPS7_llT2_lT0_lSC_b.kd
    .uniform_work_group_size: 1
    .uses_dynamic_stack: false
    .vgpr_count:     6
    .vgpr_spill_count: 0
    .wavefront_size: 32
    .workgroup_processor_mode: 1
  - .args:
      - .address_space:  global
        .offset:         0
        .size:           8
        .value_kind:     global_buffer
      - .offset:         8
        .size:           8
        .value_kind:     by_value
      - .offset:         16
        .size:           8
        .value_kind:     by_value
      - .address_space:  global
        .offset:         24
        .size:           8
        .value_kind:     global_buffer
      - .offset:         32
        .size:           8
        .value_kind:     by_value
      - .offset:         40
        .size:           4
        .value_kind:     by_value
      - .offset:         48
        .size:           8
        .value_kind:     by_value
      - .offset:         56
        .size:           4
        .value_kind:     by_value
      - .offset:         64
        .size:           4
        .value_kind:     hidden_block_count_x
      - .offset:         68
        .size:           4
        .value_kind:     hidden_block_count_y
      - .offset:         72
        .size:           4
        .value_kind:     hidden_block_count_z
      - .offset:         76
        .size:           2
        .value_kind:     hidden_group_size_x
      - .offset:         78
        .size:           2
        .value_kind:     hidden_group_size_y
      - .offset:         80
        .size:           2
        .value_kind:     hidden_group_size_z
      - .offset:         82
        .size:           2
        .value_kind:     hidden_remainder_x
      - .offset:         84
        .size:           2
        .value_kind:     hidden_remainder_y
      - .offset:         86
        .size:           2
        .value_kind:     hidden_remainder_z
      - .offset:         104
        .size:           8
        .value_kind:     hidden_global_offset_x
      - .offset:         112
        .size:           8
        .value_kind:     hidden_global_offset_y
      - .offset:         120
        .size:           8
        .value_kind:     hidden_global_offset_z
      - .offset:         128
        .size:           2
        .value_kind:     hidden_grid_dims
    .group_segment_fixed_size: 0
    .kernarg_segment_align: 8
    .kernarg_segment_size: 320
    .language:       OpenCL C
    .language_version:
      - 2
      - 0
    .max_flat_workgroup_size: 1024
    .name:           _ZN9rocsolver6v33100L12restore_diagI19rocblas_complex_numIfEiS3_PS3_EEvPT1_llT2_lT0_lS8_
    .private_segment_fixed_size: 0
    .sgpr_count:     19
    .sgpr_spill_count: 0
    .symbol:         _ZN9rocsolver6v33100L12restore_diagI19rocblas_complex_numIfEiS3_PS3_EEvPT1_llT2_lT0_lS8_.kd
    .uniform_work_group_size: 1
    .uses_dynamic_stack: false
    .vgpr_count:     4
    .vgpr_spill_count: 0
    .wavefront_size: 32
    .workgroup_processor_mode: 1
  - .args:
      - .offset:         0
        .size:           4
        .value_kind:     by_value
      - .address_space:  global
        .offset:         8
        .size:           8
        .value_kind:     global_buffer
      - .offset:         16
        .size:           4
        .value_kind:     by_value
      - .offset:         20
        .size:           4
        .value_kind:     by_value
      - .offset:         24
        .size:           8
        .value_kind:     by_value
      - .address_space:  global
        .offset:         32
        .size:           8
        .value_kind:     global_buffer
      - .offset:         40
        .size:           4
        .value_kind:     hidden_block_count_x
      - .offset:         44
        .size:           4
        .value_kind:     hidden_block_count_y
      - .offset:         48
        .size:           4
        .value_kind:     hidden_block_count_z
      - .offset:         52
        .size:           2
        .value_kind:     hidden_group_size_x
      - .offset:         54
        .size:           2
        .value_kind:     hidden_group_size_y
      - .offset:         56
        .size:           2
        .value_kind:     hidden_group_size_z
      - .offset:         58
        .size:           2
        .value_kind:     hidden_remainder_x
      - .offset:         60
        .size:           2
        .value_kind:     hidden_remainder_y
      - .offset:         62
        .size:           2
        .value_kind:     hidden_remainder_z
      - .offset:         80
        .size:           8
        .value_kind:     hidden_global_offset_x
      - .offset:         88
        .size:           8
        .value_kind:     hidden_global_offset_y
      - .offset:         96
        .size:           8
        .value_kind:     hidden_global_offset_z
      - .offset:         104
        .size:           2
        .value_kind:     hidden_grid_dims
    .group_segment_fixed_size: 4
    .kernarg_segment_align: 8
    .kernarg_segment_size: 296
    .language:       OpenCL C
    .language_version:
      - 2
      - 0
    .max_flat_workgroup_size: 1024
    .name:           _ZN9rocsolver6v33100L17check_singularityI19rocblas_complex_numIfEPS3_EEviT0_iilPi
    .private_segment_fixed_size: 0
    .sgpr_count:     18
    .sgpr_spill_count: 0
    .symbol:         _ZN9rocsolver6v33100L17check_singularityI19rocblas_complex_numIfEPS3_EEviT0_iilPi.kd
    .uniform_work_group_size: 1
    .uses_dynamic_stack: false
    .vgpr_count:     4
    .vgpr_spill_count: 0
    .wavefront_size: 32
    .workgroup_processor_mode: 1
  - .args:
      - .offset:         0
        .size:           4
        .value_kind:     by_value
      - .offset:         4
        .size:           4
        .value_kind:     by_value
      - .offset:         8
        .size:           4
        .value_kind:     by_value
      - .address_space:  global
        .offset:         16
        .size:           8
        .value_kind:     global_buffer
      - .offset:         24
        .size:           4
        .value_kind:     by_value
      - .offset:         28
        .size:           4
        .value_kind:     by_value
      - .offset:         32
        .size:           8
        .value_kind:     by_value
      - .address_space:  global
        .offset:         40
        .size:           8
        .value_kind:     global_buffer
      - .offset:         48
        .size:           16
        .value_kind:     by_value
      - .offset:         64
        .size:           4
        .value_kind:     by_value
      - .offset:         68
        .size:           4
        .value_kind:     by_value
      - .offset:         72
        .size:           4
        .value_kind:     hidden_block_count_x
      - .offset:         76
        .size:           4
        .value_kind:     hidden_block_count_y
      - .offset:         80
        .size:           4
        .value_kind:     hidden_block_count_z
      - .offset:         84
        .size:           2
        .value_kind:     hidden_group_size_x
      - .offset:         86
        .size:           2
        .value_kind:     hidden_group_size_y
      - .offset:         88
        .size:           2
        .value_kind:     hidden_group_size_z
      - .offset:         90
        .size:           2
        .value_kind:     hidden_remainder_x
      - .offset:         92
        .size:           2
        .value_kind:     hidden_remainder_y
      - .offset:         94
        .size:           2
        .value_kind:     hidden_remainder_z
      - .offset:         112
        .size:           8
        .value_kind:     hidden_global_offset_x
      - .offset:         120
        .size:           8
        .value_kind:     hidden_global_offset_y
      - .offset:         128
        .size:           8
        .value_kind:     hidden_global_offset_z
      - .offset:         136
        .size:           2
        .value_kind:     hidden_grid_dims
    .group_segment_fixed_size: 0
    .kernarg_segment_align: 8
    .kernarg_segment_size: 328
    .language:       OpenCL C
    .language_version:
      - 2
      - 0
    .max_flat_workgroup_size: 1024
    .name:           _ZN9rocsolver6v33100L8copy_matI19rocblas_complex_numIfEPS3_NS0_9info_maskEEEvNS0_17copymat_directionEiiT0_iilPT_T1_13rocblas_fill_17rocblas_diagonal_
    .private_segment_fixed_size: 0
    .sgpr_count:     20
    .sgpr_spill_count: 0
    .symbol:         _ZN9rocsolver6v33100L8copy_matI19rocblas_complex_numIfEPS3_NS0_9info_maskEEEvNS0_17copymat_directionEiiT0_iilPT_T1_13rocblas_fill_17rocblas_diagonal_.kd
    .uniform_work_group_size: 1
    .uses_dynamic_stack: false
    .vgpr_count:     8
    .vgpr_spill_count: 0
    .wavefront_size: 32
    .workgroup_processor_mode: 1
  - .args:
      - .offset:         0
        .size:           4
        .value_kind:     by_value
      - .offset:         4
        .size:           4
        .value_kind:     by_value
      - .offset:         8
        .size:           4
        .value_kind:     by_value
      - .address_space:  global
        .offset:         16
        .size:           8
        .value_kind:     global_buffer
      - .offset:         24
        .size:           4
        .value_kind:     by_value
      - .offset:         28
        .size:           4
        .value_kind:     by_value
      - .offset:         32
        .size:           8
        .value_kind:     by_value
      - .address_space:  global
        .offset:         40
        .size:           8
        .value_kind:     global_buffer
      - .offset:         48
        .size:           4
        .value_kind:     hidden_block_count_x
      - .offset:         52
        .size:           4
        .value_kind:     hidden_block_count_y
      - .offset:         56
        .size:           4
        .value_kind:     hidden_block_count_z
      - .offset:         60
        .size:           2
        .value_kind:     hidden_group_size_x
      - .offset:         62
        .size:           2
        .value_kind:     hidden_group_size_y
      - .offset:         64
        .size:           2
        .value_kind:     hidden_group_size_z
      - .offset:         66
        .size:           2
        .value_kind:     hidden_remainder_x
      - .offset:         68
        .size:           2
        .value_kind:     hidden_remainder_y
      - .offset:         70
        .size:           2
        .value_kind:     hidden_remainder_z
      - .offset:         88
        .size:           8
        .value_kind:     hidden_global_offset_x
      - .offset:         96
        .size:           8
        .value_kind:     hidden_global_offset_y
      - .offset:         104
        .size:           8
        .value_kind:     hidden_global_offset_z
      - .offset:         112
        .size:           2
        .value_kind:     hidden_grid_dims
    .group_segment_fixed_size: 0
    .kernarg_segment_align: 8
    .kernarg_segment_size: 304
    .language:       OpenCL C
    .language_version:
      - 2
      - 0
    .max_flat_workgroup_size: 1024
    .name:           _ZN9rocsolver6v33100L13gels_set_zeroI19rocblas_complex_numIfEPS3_EEviiiT0_iilPKi
    .private_segment_fixed_size: 0
    .sgpr_count:     18
    .sgpr_spill_count: 0
    .symbol:         _ZN9rocsolver6v33100L13gels_set_zeroI19rocblas_complex_numIfEPS3_EEviiiT0_iilPKi.kd
    .uniform_work_group_size: 1
    .uses_dynamic_stack: false
    .vgpr_count:     5
    .vgpr_spill_count: 0
    .wavefront_size: 32
    .workgroup_processor_mode: 1
  - .args:
      - .address_space:  global
        .offset:         0
        .size:           8
        .value_kind:     global_buffer
      - .offset:         8
        .size:           4
        .value_kind:     by_value
      - .offset:         16
        .size:           16
        .value_kind:     by_value
    .group_segment_fixed_size: 0
    .kernarg_segment_align: 8
    .kernarg_segment_size: 32
    .language:       OpenCL C
    .language_version:
      - 2
      - 0
    .max_flat_workgroup_size: 32
    .name:           _ZN9rocsolver6v33100L6iota_nI19rocblas_complex_numIdEEEvPT_jS4_
    .private_segment_fixed_size: 0
    .sgpr_count:     10
    .sgpr_spill_count: 0
    .symbol:         _ZN9rocsolver6v33100L6iota_nI19rocblas_complex_numIdEEEvPT_jS4_.kd
    .uniform_work_group_size: 1
    .uses_dynamic_stack: false
    .vgpr_count:     5
    .vgpr_spill_count: 0
    .wavefront_size: 32
    .workgroup_processor_mode: 1
  - .args:
      - .offset:         0
        .size:           4
        .value_kind:     by_value
      - .offset:         4
        .size:           4
        .value_kind:     by_value
      - .address_space:  global
        .offset:         8
        .size:           8
        .value_kind:     global_buffer
      - .offset:         16
        .size:           4
        .value_kind:     by_value
      - .offset:         20
        .size:           4
        .value_kind:     by_value
      - .offset:         24
        .size:           8
        .value_kind:     by_value
      - .offset:         32
        .size:           4
        .value_kind:     by_value
      - .offset:         40
        .size:           4
        .value_kind:     hidden_block_count_x
      - .offset:         44
        .size:           4
        .value_kind:     hidden_block_count_y
      - .offset:         48
        .size:           4
        .value_kind:     hidden_block_count_z
      - .offset:         52
        .size:           2
        .value_kind:     hidden_group_size_x
      - .offset:         54
        .size:           2
        .value_kind:     hidden_group_size_y
      - .offset:         56
        .size:           2
        .value_kind:     hidden_group_size_z
      - .offset:         58
        .size:           2
        .value_kind:     hidden_remainder_x
      - .offset:         60
        .size:           2
        .value_kind:     hidden_remainder_y
      - .offset:         62
        .size:           2
        .value_kind:     hidden_remainder_z
      - .offset:         80
        .size:           8
        .value_kind:     hidden_global_offset_x
      - .offset:         88
        .size:           8
        .value_kind:     hidden_global_offset_y
      - .offset:         96
        .size:           8
        .value_kind:     hidden_global_offset_z
      - .offset:         104
        .size:           2
        .value_kind:     hidden_grid_dims
    .group_segment_fixed_size: 0
    .kernarg_segment_align: 8
    .kernarg_segment_size: 296
    .language:       OpenCL C
    .language_version:
      - 2
      - 0
    .max_flat_workgroup_size: 1024
    .name:           _ZN9rocsolver6v33100L8set_zeroI19rocblas_complex_numIdEPS3_EEviiT0_iil13rocblas_fill_
    .private_segment_fixed_size: 0
    .sgpr_count:     18
    .sgpr_spill_count: 0
    .symbol:         _ZN9rocsolver6v33100L8set_zeroI19rocblas_complex_numIdEPS3_EEviiT0_iil13rocblas_fill_.kd
    .uniform_work_group_size: 1
    .uses_dynamic_stack: false
    .vgpr_count:     6
    .vgpr_spill_count: 0
    .wavefront_size: 32
    .workgroup_processor_mode: 1
  - .args:
      - .offset:         0
        .size:           4
        .value_kind:     by_value
      - .offset:         4
        .size:           4
        .value_kind:     by_value
      - .address_space:  global
        .offset:         8
        .size:           8
        .value_kind:     global_buffer
      - .offset:         16
        .size:           8
        .value_kind:     by_value
      - .offset:         24
        .size:           4
        .value_kind:     by_value
      - .offset:         32
        .size:           8
        .value_kind:     by_value
      - .address_space:  global
        .offset:         40
        .size:           8
        .value_kind:     global_buffer
      - .offset:         48
        .size:           8
        .value_kind:     by_value
      - .address_space:  global
        .offset:         56
        .size:           8
        .value_kind:     global_buffer
      - .offset:         64
        .size:           8
        .value_kind:     by_value
    .group_segment_fixed_size: 0
    .kernarg_segment_align: 8
    .kernarg_segment_size: 72
    .language:       OpenCL C
    .language_version:
      - 2
      - 0
    .max_flat_workgroup_size: 256
    .name:           _ZN9rocsolver6v33100L18geqr2_kernel_smallILi256E19rocblas_complex_numIdEidPS3_EEvT1_S5_T3_lS5_lPT2_lPT0_l
    .private_segment_fixed_size: 0
    .sgpr_count:     42
    .sgpr_spill_count: 0
    .symbol:         _ZN9rocsolver6v33100L18geqr2_kernel_smallILi256E19rocblas_complex_numIdEidPS3_EEvT1_S5_T3_lS5_lPT2_lPT0_l.kd
    .uniform_work_group_size: 1
    .uses_dynamic_stack: false
    .vgpr_count:     56
    .vgpr_spill_count: 0
    .wavefront_size: 32
    .workgroup_processor_mode: 1
  - .args:
      - .address_space:  global
        .offset:         0
        .size:           8
        .value_kind:     global_buffer
      - .offset:         8
        .size:           8
        .value_kind:     by_value
      - .offset:         16
        .size:           4
        .value_kind:     by_value
      - .offset:         20
        .size:           4
        .value_kind:     by_value
      - .offset:         24
        .size:           4
        .value_kind:     hidden_block_count_x
      - .offset:         28
        .size:           4
        .value_kind:     hidden_block_count_y
      - .offset:         32
        .size:           4
        .value_kind:     hidden_block_count_z
      - .offset:         36
        .size:           2
        .value_kind:     hidden_group_size_x
      - .offset:         38
        .size:           2
        .value_kind:     hidden_group_size_y
      - .offset:         40
        .size:           2
        .value_kind:     hidden_group_size_z
      - .offset:         42
        .size:           2
        .value_kind:     hidden_remainder_x
      - .offset:         44
        .size:           2
        .value_kind:     hidden_remainder_y
      - .offset:         46
        .size:           2
        .value_kind:     hidden_remainder_z
      - .offset:         64
        .size:           8
        .value_kind:     hidden_global_offset_x
      - .offset:         72
        .size:           8
        .value_kind:     hidden_global_offset_y
      - .offset:         80
        .size:           8
        .value_kind:     hidden_global_offset_z
      - .offset:         88
        .size:           2
        .value_kind:     hidden_grid_dims
    .group_segment_fixed_size: 0
    .kernarg_segment_align: 8
    .kernarg_segment_size: 280
    .language:       OpenCL C
    .language_version:
      - 2
      - 0
    .max_flat_workgroup_size: 1024
    .name:           _ZN9rocsolver6v33100L16reset_batch_infoI19rocblas_complex_numIdEiiPS3_EEvT2_lT0_T1_
    .private_segment_fixed_size: 0
    .sgpr_count:     18
    .sgpr_spill_count: 0
    .symbol:         _ZN9rocsolver6v33100L16reset_batch_infoI19rocblas_complex_numIdEiiPS3_EEvT2_lT0_T1_.kd
    .uniform_work_group_size: 1
    .uses_dynamic_stack: false
    .vgpr_count:     7
    .vgpr_spill_count: 0
    .wavefront_size: 32
    .workgroup_processor_mode: 1
  - .args:
      - .address_space:  global
        .offset:         0
        .size:           8
        .value_kind:     global_buffer
      - .offset:         8
        .size:           8
        .value_kind:     by_value
      - .offset:         16
        .size:           8
        .value_kind:     by_value
      - .address_space:  global
        .offset:         24
        .size:           8
        .value_kind:     global_buffer
      - .offset:         32
        .size:           8
        .value_kind:     by_value
      - .offset:         40
        .size:           4
        .value_kind:     by_value
      - .offset:         48
        .size:           8
        .value_kind:     by_value
      - .offset:         56
        .size:           4
        .value_kind:     by_value
      - .offset:         60
        .size:           1
        .value_kind:     by_value
      - .offset:         64
        .size:           4
        .value_kind:     hidden_block_count_x
      - .offset:         68
        .size:           4
        .value_kind:     hidden_block_count_y
      - .offset:         72
        .size:           4
        .value_kind:     hidden_block_count_z
      - .offset:         76
        .size:           2
        .value_kind:     hidden_group_size_x
      - .offset:         78
        .size:           2
        .value_kind:     hidden_group_size_y
      - .offset:         80
        .size:           2
        .value_kind:     hidden_group_size_z
      - .offset:         82
        .size:           2
        .value_kind:     hidden_remainder_x
      - .offset:         84
        .size:           2
        .value_kind:     hidden_remainder_y
      - .offset:         86
        .size:           2
        .value_kind:     hidden_remainder_z
      - .offset:         104
        .size:           8
        .value_kind:     hidden_global_offset_x
      - .offset:         112
        .size:           8
        .value_kind:     hidden_global_offset_y
      - .offset:         120
        .size:           8
        .value_kind:     hidden_global_offset_z
      - .offset:         128
        .size:           2
        .value_kind:     hidden_grid_dims
    .group_segment_fixed_size: 0
    .kernarg_segment_align: 8
    .kernarg_segment_size: 320
    .language:       OpenCL C
    .language_version:
      - 2
      - 0
    .max_flat_workgroup_size: 1024
    .name:           _ZN9rocsolver6v33100L8set_diagI19rocblas_complex_numIdEidPS3_TnNSt9enable_ifIXaa18rocblas_is_complexIT_Ent18rocblas_is_complexIT1_EEiE4typeELi0EEEvPS7_llT2_lT0_lSC_b
    .private_segment_fixed_size: 0
    .sgpr_count:     19
    .sgpr_spill_count: 0
    .symbol:         _ZN9rocsolver6v33100L8set_diagI19rocblas_complex_numIdEidPS3_TnNSt9enable_ifIXaa18rocblas_is_complexIT_Ent18rocblas_is_complexIT1_EEiE4typeELi0EEEvPS7_llT2_lT0_lSC_b.kd
    .uniform_work_group_size: 1
    .uses_dynamic_stack: false
    .vgpr_count:     6
    .vgpr_spill_count: 0
    .wavefront_size: 32
    .workgroup_processor_mode: 1
  - .args:
      - .address_space:  global
        .offset:         0
        .size:           8
        .value_kind:     global_buffer
      - .offset:         8
        .size:           8
        .value_kind:     by_value
      - .address_space:  global
        .offset:         16
        .size:           8
        .value_kind:     global_buffer
      - .address_space:  global
        .offset:         24
        .size:           8
        .value_kind:     global_buffer
      - .offset:         32
        .size:           8
        .value_kind:     by_value
      - .offset:         40
        .size:           8
        .value_kind:     by_value
      - .address_space:  global
        .offset:         48
        .size:           8
        .value_kind:     global_buffer
      - .offset:         56
        .size:           8
        .value_kind:     by_value
      - .offset:         64
        .size:           8
        .value_kind:     by_value
    .group_segment_fixed_size: 0
    .kernarg_segment_align: 8
    .kernarg_segment_size: 72
    .language:       OpenCL C
    .language_version:
      - 2
      - 0
    .max_flat_workgroup_size: 1024
    .name:           _ZN9rocsolver6v33100L11set_taubetaI19rocblas_complex_numIdEidPS3_EEvPT_lS6_T2_llPT1_ll
    .private_segment_fixed_size: 0
    .sgpr_count:     24
    .sgpr_spill_count: 0
    .symbol:         _ZN9rocsolver6v33100L11set_taubetaI19rocblas_complex_numIdEidPS3_EEvPT_lS6_T2_llPT1_ll.kd
    .uniform_work_group_size: 1
    .uses_dynamic_stack: false
    .vgpr_count:     40
    .vgpr_spill_count: 0
    .wavefront_size: 32
    .workgroup_processor_mode: 1
  - .args:
      - .offset:         0
        .size:           4
        .value_kind:     by_value
      - .offset:         4
        .size:           4
        .value_kind:     by_value
      - .address_space:  global
        .offset:         8
        .size:           8
        .value_kind:     global_buffer
      - .offset:         16
        .size:           8
        .value_kind:     by_value
      - .offset:         24
        .size:           4
        .value_kind:     by_value
      - .offset:         32
        .size:           8
        .value_kind:     by_value
      - .offset:         40
        .size:           4
        .value_kind:     hidden_block_count_x
      - .offset:         44
        .size:           4
        .value_kind:     hidden_block_count_y
      - .offset:         48
        .size:           4
        .value_kind:     hidden_block_count_z
      - .offset:         52
        .size:           2
        .value_kind:     hidden_group_size_x
      - .offset:         54
        .size:           2
        .value_kind:     hidden_group_size_y
      - .offset:         56
        .size:           2
        .value_kind:     hidden_group_size_z
      - .offset:         58
        .size:           2
        .value_kind:     hidden_remainder_x
      - .offset:         60
        .size:           2
        .value_kind:     hidden_remainder_y
      - .offset:         62
        .size:           2
        .value_kind:     hidden_remainder_z
      - .offset:         80
        .size:           8
        .value_kind:     hidden_global_offset_x
      - .offset:         88
        .size:           8
        .value_kind:     hidden_global_offset_y
      - .offset:         96
        .size:           8
        .value_kind:     hidden_global_offset_z
      - .offset:         104
        .size:           2
        .value_kind:     hidden_grid_dims
    .group_segment_fixed_size: 0
    .kernarg_segment_align: 8
    .kernarg_segment_size: 296
    .language:       OpenCL C
    .language_version:
      - 2
      - 0
    .max_flat_workgroup_size: 1024
    .name:           _ZN9rocsolver6v33100L13conj_in_placeI19rocblas_complex_numIdEiPS3_TnNSt9enable_ifIX18rocblas_is_complexIT_EEiE4typeELi0EEEvT0_S9_T1_lS9_l
    .private_segment_fixed_size: 0
    .sgpr_count:     18
    .sgpr_spill_count: 0
    .symbol:         _ZN9rocsolver6v33100L13conj_in_placeI19rocblas_complex_numIdEiPS3_TnNSt9enable_ifIX18rocblas_is_complexIT_EEiE4typeELi0EEEvT0_S9_T1_lS9_l.kd
    .uniform_work_group_size: 1
    .uses_dynamic_stack: false
    .vgpr_count:     8
    .vgpr_spill_count: 0
    .wavefront_size: 32
    .workgroup_processor_mode: 1
  - .args:
      - .offset:         0
        .size:           4
        .value_kind:     by_value
      - .offset:         4
        .size:           4
        .value_kind:     by_value
      - .address_space:  global
        .offset:         8
        .size:           8
        .value_kind:     global_buffer
      - .offset:         16
        .size:           8
        .value_kind:     by_value
      - .offset:         24
        .size:           4
        .value_kind:     by_value
      - .offset:         32
        .size:           8
        .value_kind:     by_value
      - .address_space:  global
        .offset:         40
        .size:           8
        .value_kind:     global_buffer
      - .offset:         48
        .size:           8
        .value_kind:     by_value
      - .address_space:  global
        .offset:         56
        .size:           8
        .value_kind:     global_buffer
      - .offset:         64
        .size:           8
        .value_kind:     by_value
      - .offset:         72
        .size:           4
        .value_kind:     by_value
      - .offset:         80
        .size:           8
        .value_kind:     by_value
    .group_segment_fixed_size: 0
    .kernarg_segment_align: 8
    .kernarg_segment_size: 88
    .language:       OpenCL C
    .language_version:
      - 2
      - 0
    .max_flat_workgroup_size: 1024
    .name:           _ZN9rocsolver6v33100L16larf_left_kernelILi1024E19rocblas_complex_numIdEiPS3_EEvT1_S5_T2_lS5_lPKT0_lS6_lS5_l
    .private_segment_fixed_size: 0
    .sgpr_count:     32
    .sgpr_spill_count: 0
    .symbol:         _ZN9rocsolver6v33100L16larf_left_kernelILi1024E19rocblas_complex_numIdEiPS3_EEvT1_S5_T2_lS5_lPKT0_lS6_lS5_l.kd
    .uniform_work_group_size: 1
    .uses_dynamic_stack: false
    .vgpr_count:     20
    .vgpr_spill_count: 0
    .wavefront_size: 32
    .workgroup_processor_mode: 1
  - .args:
      - .offset:         0
        .size:           4
        .value_kind:     by_value
      - .offset:         4
        .size:           4
        .value_kind:     by_value
      - .address_space:  global
        .offset:         8
        .size:           8
        .value_kind:     global_buffer
      - .offset:         16
        .size:           8
        .value_kind:     by_value
      - .offset:         24
        .size:           4
        .value_kind:     by_value
      - .offset:         32
        .size:           8
        .value_kind:     by_value
      - .address_space:  global
        .offset:         40
        .size:           8
        .value_kind:     global_buffer
      - .offset:         48
        .size:           8
        .value_kind:     by_value
      - .address_space:  global
        .offset:         56
        .size:           8
        .value_kind:     global_buffer
      - .offset:         64
        .size:           8
        .value_kind:     by_value
      - .offset:         72
        .size:           4
        .value_kind:     by_value
      - .offset:         80
        .size:           8
        .value_kind:     by_value
    .group_segment_fixed_size: 0
    .kernarg_segment_align: 8
    .kernarg_segment_size: 88
    .language:       OpenCL C
    .language_version:
      - 2
      - 0
    .max_flat_workgroup_size: 1024
    .name:           _ZN9rocsolver6v33100L17larf_right_kernelILi1024E19rocblas_complex_numIdEiPS3_EEvT1_S5_T2_lS5_lPKT0_lS6_lS5_l
    .private_segment_fixed_size: 0
    .sgpr_count:     36
    .sgpr_spill_count: 0
    .symbol:         _ZN9rocsolver6v33100L17larf_right_kernelILi1024E19rocblas_complex_numIdEiPS3_EEvT1_S5_T2_lS5_lPKT0_lS6_lS5_l.kd
    .uniform_work_group_size: 1
    .uses_dynamic_stack: false
    .vgpr_count:     20
    .vgpr_spill_count: 0
    .wavefront_size: 32
    .workgroup_processor_mode: 1
  - .args:
      - .address_space:  global
        .offset:         0
        .size:           8
        .value_kind:     global_buffer
      - .offset:         8
        .size:           8
        .value_kind:     by_value
      - .offset:         16
        .size:           8
        .value_kind:     by_value
      - .address_space:  global
        .offset:         24
        .size:           8
        .value_kind:     global_buffer
      - .offset:         32
        .size:           8
        .value_kind:     by_value
      - .offset:         40
        .size:           4
        .value_kind:     by_value
      - .offset:         48
        .size:           8
        .value_kind:     by_value
      - .offset:         56
        .size:           4
        .value_kind:     by_value
      - .offset:         64
        .size:           4
        .value_kind:     hidden_block_count_x
      - .offset:         68
        .size:           4
        .value_kind:     hidden_block_count_y
      - .offset:         72
        .size:           4
        .value_kind:     hidden_block_count_z
      - .offset:         76
        .size:           2
        .value_kind:     hidden_group_size_x
      - .offset:         78
        .size:           2
        .value_kind:     hidden_group_size_y
      - .offset:         80
        .size:           2
        .value_kind:     hidden_group_size_z
      - .offset:         82
        .size:           2
        .value_kind:     hidden_remainder_x
      - .offset:         84
        .size:           2
        .value_kind:     hidden_remainder_y
      - .offset:         86
        .size:           2
        .value_kind:     hidden_remainder_z
      - .offset:         104
        .size:           8
        .value_kind:     hidden_global_offset_x
      - .offset:         112
        .size:           8
        .value_kind:     hidden_global_offset_y
      - .offset:         120
        .size:           8
        .value_kind:     hidden_global_offset_z
      - .offset:         128
        .size:           2
        .value_kind:     hidden_grid_dims
    .group_segment_fixed_size: 0
    .kernarg_segment_align: 8
    .kernarg_segment_size: 320
    .language:       OpenCL C
    .language_version:
      - 2
      - 0
    .max_flat_workgroup_size: 1024
    .name:           _ZN9rocsolver6v33100L12restore_diagI19rocblas_complex_numIdEidPS3_EEvPT1_llT2_lT0_lS8_
    .private_segment_fixed_size: 0
    .sgpr_count:     19
    .sgpr_spill_count: 0
    .symbol:         _ZN9rocsolver6v33100L12restore_diagI19rocblas_complex_numIdEidPS3_EEvPT1_llT2_lT0_lS8_.kd
    .uniform_work_group_size: 1
    .uses_dynamic_stack: false
    .vgpr_count:     7
    .vgpr_spill_count: 0
    .wavefront_size: 32
    .workgroup_processor_mode: 1
  - .args:
      - .offset:         0
        .size:           4
        .value_kind:     by_value
      - .offset:         4
        .size:           4
        .value_kind:     by_value
      - .address_space:  global
        .offset:         8
        .size:           8
        .value_kind:     global_buffer
      - .offset:         16
        .size:           4
        .value_kind:     by_value
      - .offset:         20
        .size:           4
        .value_kind:     by_value
      - .offset:         24
        .size:           8
        .value_kind:     by_value
      - .address_space:  global
        .offset:         32
        .size:           8
        .value_kind:     global_buffer
      - .offset:         40
        .size:           8
        .value_kind:     by_value
      - .address_space:  global
        .offset:         48
        .size:           8
        .value_kind:     global_buffer
      - .offset:         56
        .size:           4
        .value_kind:     by_value
      - .offset:         64
        .size:           8
        .value_kind:     by_value
      - .offset:         72
        .size:           4
        .value_kind:     by_value
      - .offset:         76
        .size:           4
        .value_kind:     by_value
      - .offset:         80
        .size:           1
        .value_kind:     by_value
      - .offset:         88
        .size:           4
        .value_kind:     hidden_block_count_x
      - .offset:         92
        .size:           4
        .value_kind:     hidden_block_count_y
      - .offset:         96
        .size:           4
        .value_kind:     hidden_block_count_z
      - .offset:         100
        .size:           2
        .value_kind:     hidden_group_size_x
      - .offset:         102
        .size:           2
        .value_kind:     hidden_group_size_y
      - .offset:         104
        .size:           2
        .value_kind:     hidden_group_size_z
      - .offset:         106
        .size:           2
        .value_kind:     hidden_remainder_x
      - .offset:         108
        .size:           2
        .value_kind:     hidden_remainder_y
      - .offset:         110
        .size:           2
        .value_kind:     hidden_remainder_z
      - .offset:         128
        .size:           8
        .value_kind:     hidden_global_offset_x
      - .offset:         136
        .size:           8
        .value_kind:     hidden_global_offset_y
      - .offset:         144
        .size:           8
        .value_kind:     hidden_global_offset_z
      - .offset:         152
        .size:           2
        .value_kind:     hidden_grid_dims
    .group_segment_fixed_size: 0
    .kernarg_segment_align: 8
    .kernarg_segment_size: 344
    .language:       OpenCL C
    .language_version:
      - 2
      - 0
    .max_flat_workgroup_size: 1024
    .name:           _ZN9rocsolver6v33100L14set_triangularI19rocblas_complex_numIdEPS3_TnNSt9enable_ifIX18rocblas_is_complexIT_EEiE4typeELi0EEEviiT0_iilPS6_lSA_il15rocblas_direct_15rocblas_storev_b
    .private_segment_fixed_size: 0
    .sgpr_count:     24
    .sgpr_spill_count: 0
    .symbol:         _ZN9rocsolver6v33100L14set_triangularI19rocblas_complex_numIdEPS3_TnNSt9enable_ifIX18rocblas_is_complexIT_EEiE4typeELi0EEEviiT0_iilPS6_lSA_il15rocblas_direct_15rocblas_storev_b.kd
    .uniform_work_group_size: 1
    .uses_dynamic_stack: false
    .vgpr_count:     21
    .vgpr_spill_count: 0
    .wavefront_size: 32
    .workgroup_processor_mode: 1
  - .args:
      - .offset:         0
        .size:           4
        .value_kind:     by_value
      - .address_space:  global
        .offset:         8
        .size:           8
        .value_kind:     global_buffer
      - .offset:         16
        .size:           8
        .value_kind:     by_value
      - .offset:         24
        .size:           4
        .value_kind:     hidden_block_count_x
      - .offset:         28
        .size:           4
        .value_kind:     hidden_block_count_y
      - .offset:         32
        .size:           4
        .value_kind:     hidden_block_count_z
      - .offset:         36
        .size:           2
        .value_kind:     hidden_group_size_x
      - .offset:         38
        .size:           2
        .value_kind:     hidden_group_size_y
      - .offset:         40
        .size:           2
        .value_kind:     hidden_group_size_z
      - .offset:         42
        .size:           2
        .value_kind:     hidden_remainder_x
      - .offset:         44
        .size:           2
        .value_kind:     hidden_remainder_y
      - .offset:         46
        .size:           2
        .value_kind:     hidden_remainder_z
      - .offset:         64
        .size:           8
        .value_kind:     hidden_global_offset_x
      - .offset:         72
        .size:           8
        .value_kind:     hidden_global_offset_y
      - .offset:         80
        .size:           8
        .value_kind:     hidden_global_offset_z
      - .offset:         88
        .size:           2
        .value_kind:     hidden_grid_dims
    .group_segment_fixed_size: 0
    .kernarg_segment_align: 8
    .kernarg_segment_size: 280
    .language:       OpenCL C
    .language_version:
      - 2
      - 0
    .max_flat_workgroup_size: 1024
    .name:           _ZN9rocsolver6v33100L7set_tauI19rocblas_complex_numIdEEEviPT_l
    .private_segment_fixed_size: 0
    .sgpr_count:     18
    .sgpr_spill_count: 0
    .symbol:         _ZN9rocsolver6v33100L7set_tauI19rocblas_complex_numIdEEEviPT_l.kd
    .uniform_work_group_size: 1
    .uses_dynamic_stack: false
    .vgpr_count:     6
    .vgpr_spill_count: 0
    .wavefront_size: 32
    .workgroup_processor_mode: 1
  - .args:
      - .offset:         0
        .size:           4
        .value_kind:     by_value
      - .offset:         4
        .size:           4
        .value_kind:     by_value
      - .offset:         8
        .size:           4
        .value_kind:     by_value
      - .address_space:  global
        .offset:         16
        .size:           8
        .value_kind:     global_buffer
      - .offset:         24
        .size:           4
        .value_kind:     by_value
      - .offset:         28
        .size:           4
        .value_kind:     by_value
      - .offset:         32
        .size:           8
        .value_kind:     by_value
      - .address_space:  global
        .offset:         40
        .size:           8
        .value_kind:     global_buffer
      - .offset:         48
        .size:           8
        .value_kind:     by_value
      - .address_space:  global
        .offset:         56
        .size:           8
        .value_kind:     global_buffer
      - .offset:         64
        .size:           4
        .value_kind:     by_value
      - .offset:         72
        .size:           8
        .value_kind:     by_value
      - .offset:         80
        .size:           4
        .value_kind:     hidden_block_count_x
      - .offset:         84
        .size:           4
        .value_kind:     hidden_block_count_y
      - .offset:         88
        .size:           4
        .value_kind:     hidden_block_count_z
      - .offset:         92
        .size:           2
        .value_kind:     hidden_group_size_x
      - .offset:         94
        .size:           2
        .value_kind:     hidden_group_size_y
      - .offset:         96
        .size:           2
        .value_kind:     hidden_group_size_z
      - .offset:         98
        .size:           2
        .value_kind:     hidden_remainder_x
      - .offset:         100
        .size:           2
        .value_kind:     hidden_remainder_y
      - .offset:         102
        .size:           2
        .value_kind:     hidden_remainder_z
      - .offset:         120
        .size:           8
        .value_kind:     hidden_global_offset_x
      - .offset:         128
        .size:           8
        .value_kind:     hidden_global_offset_y
      - .offset:         136
        .size:           8
        .value_kind:     hidden_global_offset_z
      - .offset:         144
        .size:           2
        .value_kind:     hidden_grid_dims
      - .offset:         200
        .size:           4
        .value_kind:     hidden_dynamic_lds_size
    .group_segment_fixed_size: 0
    .kernarg_segment_align: 8
    .kernarg_segment_size: 336
    .language:       OpenCL C
    .language_version:
      - 2
      - 0
    .max_flat_workgroup_size: 1024
    .name:           _ZN9rocsolver6v33100L20larft_kernel_forwardI19rocblas_complex_numIdEPS3_EEv15rocblas_storev_iiT0_iilPT_lS8_il
    .private_segment_fixed_size: 0
    .sgpr_count:     50
    .sgpr_spill_count: 0
    .symbol:         _ZN9rocsolver6v33100L20larft_kernel_forwardI19rocblas_complex_numIdEPS3_EEv15rocblas_storev_iiT0_iilPT_lS8_il.kd
    .uniform_work_group_size: 1
    .uses_dynamic_stack: false
    .vgpr_count:     27
    .vgpr_spill_count: 0
    .wavefront_size: 32
    .workgroup_processor_mode: 1
  - .args:
      - .offset:         0
        .size:           4
        .value_kind:     by_value
      - .offset:         4
        .size:           4
        .value_kind:     by_value
      - .offset:         8
        .size:           4
        .value_kind:     by_value
      - .address_space:  global
        .offset:         16
        .size:           8
        .value_kind:     global_buffer
      - .offset:         24
        .size:           4
        .value_kind:     by_value
      - .offset:         28
        .size:           4
        .value_kind:     by_value
      - .offset:         32
        .size:           8
        .value_kind:     by_value
      - .address_space:  global
        .offset:         40
        .size:           8
        .value_kind:     global_buffer
      - .offset:         48
        .size:           8
        .value_kind:     by_value
      - .address_space:  global
        .offset:         56
        .size:           8
        .value_kind:     global_buffer
      - .offset:         64
        .size:           4
        .value_kind:     by_value
      - .offset:         72
        .size:           8
        .value_kind:     by_value
      - .offset:         80
        .size:           4
        .value_kind:     hidden_block_count_x
      - .offset:         84
        .size:           4
        .value_kind:     hidden_block_count_y
      - .offset:         88
        .size:           4
        .value_kind:     hidden_block_count_z
      - .offset:         92
        .size:           2
        .value_kind:     hidden_group_size_x
      - .offset:         94
        .size:           2
        .value_kind:     hidden_group_size_y
      - .offset:         96
        .size:           2
        .value_kind:     hidden_group_size_z
      - .offset:         98
        .size:           2
        .value_kind:     hidden_remainder_x
      - .offset:         100
        .size:           2
        .value_kind:     hidden_remainder_y
      - .offset:         102
        .size:           2
        .value_kind:     hidden_remainder_z
      - .offset:         120
        .size:           8
        .value_kind:     hidden_global_offset_x
      - .offset:         128
        .size:           8
        .value_kind:     hidden_global_offset_y
      - .offset:         136
        .size:           8
        .value_kind:     hidden_global_offset_z
      - .offset:         144
        .size:           2
        .value_kind:     hidden_grid_dims
      - .offset:         200
        .size:           4
        .value_kind:     hidden_dynamic_lds_size
    .group_segment_fixed_size: 0
    .kernarg_segment_align: 8
    .kernarg_segment_size: 336
    .language:       OpenCL C
    .language_version:
      - 2
      - 0
    .max_flat_workgroup_size: 1024
    .name:           _ZN9rocsolver6v33100L21larft_kernel_backwardI19rocblas_complex_numIdEPS3_EEv15rocblas_storev_iiT0_iilPT_lS8_il
    .private_segment_fixed_size: 0
    .sgpr_count:     54
    .sgpr_spill_count: 0
    .symbol:         _ZN9rocsolver6v33100L21larft_kernel_backwardI19rocblas_complex_numIdEPS3_EEv15rocblas_storev_iiT0_iilPT_lS8_il.kd
    .uniform_work_group_size: 1
    .uses_dynamic_stack: false
    .vgpr_count:     24
    .vgpr_spill_count: 0
    .wavefront_size: 32
    .workgroup_processor_mode: 1
  - .args:
      - .offset:         0
        .size:           4
        .value_kind:     by_value
      - .offset:         4
        .size:           4
        .value_kind:     by_value
      - .address_space:  global
        .offset:         8
        .size:           8
        .value_kind:     global_buffer
      - .offset:         16
        .size:           4
        .value_kind:     by_value
      - .offset:         20
        .size:           4
        .value_kind:     by_value
      - .offset:         24
        .size:           8
        .value_kind:     by_value
      - .address_space:  global
        .offset:         32
        .size:           8
        .value_kind:     global_buffer
      - .offset:         40
        .size:           4
        .value_kind:     hidden_block_count_x
      - .offset:         44
        .size:           4
        .value_kind:     hidden_block_count_y
      - .offset:         48
        .size:           4
        .value_kind:     hidden_block_count_z
      - .offset:         52
        .size:           2
        .value_kind:     hidden_group_size_x
      - .offset:         54
        .size:           2
        .value_kind:     hidden_group_size_y
      - .offset:         56
        .size:           2
        .value_kind:     hidden_group_size_z
      - .offset:         58
        .size:           2
        .value_kind:     hidden_remainder_x
      - .offset:         60
        .size:           2
        .value_kind:     hidden_remainder_y
      - .offset:         62
        .size:           2
        .value_kind:     hidden_remainder_z
      - .offset:         80
        .size:           8
        .value_kind:     hidden_global_offset_x
      - .offset:         88
        .size:           8
        .value_kind:     hidden_global_offset_y
      - .offset:         96
        .size:           8
        .value_kind:     hidden_global_offset_z
      - .offset:         104
        .size:           2
        .value_kind:     hidden_grid_dims
    .group_segment_fixed_size: 0
    .kernarg_segment_align: 8
    .kernarg_segment_size: 296
    .language:       OpenCL C
    .language_version:
      - 2
      - 0
    .max_flat_workgroup_size: 1024
    .name:           _ZN9rocsolver6v33100L9copymatA1I19rocblas_complex_numIdEPS3_EEviiT0_iilPT_
    .private_segment_fixed_size: 0
    .sgpr_count:     18
    .sgpr_spill_count: 0
    .symbol:         _ZN9rocsolver6v33100L9copymatA1I19rocblas_complex_numIdEPS3_EEviiT0_iilPT_.kd
    .uniform_work_group_size: 1
    .uses_dynamic_stack: false
    .vgpr_count:     9
    .vgpr_spill_count: 0
    .wavefront_size: 32
    .workgroup_processor_mode: 1
  - .args:
      - .offset:         0
        .size:           4
        .value_kind:     by_value
      - .offset:         4
        .size:           4
        .value_kind:     by_value
      - .address_space:  global
        .offset:         8
        .size:           8
        .value_kind:     global_buffer
      - .offset:         16
        .size:           4
        .value_kind:     by_value
      - .offset:         20
        .size:           4
        .value_kind:     by_value
      - .offset:         24
        .size:           8
        .value_kind:     by_value
      - .address_space:  global
        .offset:         32
        .size:           8
        .value_kind:     global_buffer
      - .offset:         40
        .size:           4
        .value_kind:     hidden_block_count_x
      - .offset:         44
        .size:           4
        .value_kind:     hidden_block_count_y
      - .offset:         48
        .size:           4
        .value_kind:     hidden_block_count_z
      - .offset:         52
        .size:           2
        .value_kind:     hidden_group_size_x
      - .offset:         54
        .size:           2
        .value_kind:     hidden_group_size_y
      - .offset:         56
        .size:           2
        .value_kind:     hidden_group_size_z
      - .offset:         58
        .size:           2
        .value_kind:     hidden_remainder_x
      - .offset:         60
        .size:           2
        .value_kind:     hidden_remainder_y
      - .offset:         62
        .size:           2
        .value_kind:     hidden_remainder_z
      - .offset:         80
        .size:           8
        .value_kind:     hidden_global_offset_x
      - .offset:         88
        .size:           8
        .value_kind:     hidden_global_offset_y
      - .offset:         96
        .size:           8
        .value_kind:     hidden_global_offset_z
      - .offset:         104
        .size:           2
        .value_kind:     hidden_grid_dims
    .group_segment_fixed_size: 0
    .kernarg_segment_align: 8
    .kernarg_segment_size: 296
    .language:       OpenCL C
    .language_version:
      - 2
      - 0
    .max_flat_workgroup_size: 1024
    .name:           _ZN9rocsolver6v33100L8addmatA1I19rocblas_complex_numIdEPS3_EEviiT0_iilPT_
    .private_segment_fixed_size: 0
    .sgpr_count:     18
    .sgpr_spill_count: 0
    .symbol:         _ZN9rocsolver6v33100L8addmatA1I19rocblas_complex_numIdEPS3_EEviiT0_iilPT_.kd
    .uniform_work_group_size: 1
    .uses_dynamic_stack: false
    .vgpr_count:     10
    .vgpr_spill_count: 0
    .wavefront_size: 32
    .workgroup_processor_mode: 1
  - .args:
      - .address_space:  global
        .offset:         0
        .size:           8
        .value_kind:     global_buffer
      - .offset:         8
        .size:           8
        .value_kind:     by_value
      - .offset:         16
        .size:           8
        .value_kind:     by_value
      - .address_space:  global
        .offset:         24
        .size:           8
        .value_kind:     global_buffer
      - .offset:         32
        .size:           8
        .value_kind:     by_value
      - .offset:         40
        .size:           4
        .value_kind:     by_value
      - .offset:         48
        .size:           8
        .value_kind:     by_value
      - .offset:         56
        .size:           4
        .value_kind:     by_value
      - .offset:         60
        .size:           1
        .value_kind:     by_value
      - .offset:         64
        .size:           4
        .value_kind:     hidden_block_count_x
      - .offset:         68
        .size:           4
        .value_kind:     hidden_block_count_y
      - .offset:         72
        .size:           4
        .value_kind:     hidden_block_count_z
      - .offset:         76
        .size:           2
        .value_kind:     hidden_group_size_x
      - .offset:         78
        .size:           2
        .value_kind:     hidden_group_size_y
      - .offset:         80
        .size:           2
        .value_kind:     hidden_group_size_z
      - .offset:         82
        .size:           2
        .value_kind:     hidden_remainder_x
      - .offset:         84
        .size:           2
        .value_kind:     hidden_remainder_y
      - .offset:         86
        .size:           2
        .value_kind:     hidden_remainder_z
      - .offset:         104
        .size:           8
        .value_kind:     hidden_global_offset_x
      - .offset:         112
        .size:           8
        .value_kind:     hidden_global_offset_y
      - .offset:         120
        .size:           8
        .value_kind:     hidden_global_offset_z
      - .offset:         128
        .size:           2
        .value_kind:     hidden_grid_dims
    .group_segment_fixed_size: 0
    .kernarg_segment_align: 8
    .kernarg_segment_size: 320
    .language:       OpenCL C
    .language_version:
      - 2
      - 0
    .max_flat_workgroup_size: 1024
    .name:           _ZN9rocsolver6v33100L8set_diagI19rocblas_complex_numIdEiS3_PS3_TnNSt9enable_ifIXoont18rocblas_is_complexIT_E18rocblas_is_complexIT1_EEiE4typeELi0EEEvPS7_llT2_lT0_lSC_b
    .private_segment_fixed_size: 0
    .sgpr_count:     19
    .sgpr_spill_count: 0
    .symbol:         _ZN9rocsolver6v33100L8set_diagI19rocblas_complex_numIdEiS3_PS3_TnNSt9enable_ifIXoont18rocblas_is_complexIT_E18rocblas_is_complexIT1_EEiE4typeELi0EEEvPS7_llT2_lT0_lSC_b.kd
    .uniform_work_group_size: 1
    .uses_dynamic_stack: false
    .vgpr_count:     10
    .vgpr_spill_count: 0
    .wavefront_size: 32
    .workgroup_processor_mode: 1
  - .args:
      - .address_space:  global
        .offset:         0
        .size:           8
        .value_kind:     global_buffer
      - .offset:         8
        .size:           8
        .value_kind:     by_value
      - .offset:         16
        .size:           8
        .value_kind:     by_value
      - .address_space:  global
        .offset:         24
        .size:           8
        .value_kind:     global_buffer
      - .offset:         32
        .size:           8
        .value_kind:     by_value
      - .offset:         40
        .size:           4
        .value_kind:     by_value
      - .offset:         48
        .size:           8
        .value_kind:     by_value
      - .offset:         56
        .size:           4
        .value_kind:     by_value
      - .offset:         64
        .size:           4
        .value_kind:     hidden_block_count_x
      - .offset:         68
        .size:           4
        .value_kind:     hidden_block_count_y
      - .offset:         72
        .size:           4
        .value_kind:     hidden_block_count_z
      - .offset:         76
        .size:           2
        .value_kind:     hidden_group_size_x
      - .offset:         78
        .size:           2
        .value_kind:     hidden_group_size_y
      - .offset:         80
        .size:           2
        .value_kind:     hidden_group_size_z
      - .offset:         82
        .size:           2
        .value_kind:     hidden_remainder_x
      - .offset:         84
        .size:           2
        .value_kind:     hidden_remainder_y
      - .offset:         86
        .size:           2
        .value_kind:     hidden_remainder_z
      - .offset:         104
        .size:           8
        .value_kind:     hidden_global_offset_x
      - .offset:         112
        .size:           8
        .value_kind:     hidden_global_offset_y
      - .offset:         120
        .size:           8
        .value_kind:     hidden_global_offset_z
      - .offset:         128
        .size:           2
        .value_kind:     hidden_grid_dims
    .group_segment_fixed_size: 0
    .kernarg_segment_align: 8
    .kernarg_segment_size: 320
    .language:       OpenCL C
    .language_version:
      - 2
      - 0
    .max_flat_workgroup_size: 1024
    .name:           _ZN9rocsolver6v33100L12restore_diagI19rocblas_complex_numIdEiS3_PS3_EEvPT1_llT2_lT0_lS8_
    .private_segment_fixed_size: 0
    .sgpr_count:     19
    .sgpr_spill_count: 0
    .symbol:         _ZN9rocsolver6v33100L12restore_diagI19rocblas_complex_numIdEiS3_PS3_EEvPT1_llT2_lT0_lS8_.kd
    .uniform_work_group_size: 1
    .uses_dynamic_stack: false
    .vgpr_count:     6
    .vgpr_spill_count: 0
    .wavefront_size: 32
    .workgroup_processor_mode: 1
  - .args:
      - .offset:         0
        .size:           4
        .value_kind:     by_value
      - .address_space:  global
        .offset:         8
        .size:           8
        .value_kind:     global_buffer
      - .offset:         16
        .size:           4
        .value_kind:     by_value
      - .offset:         20
        .size:           4
        .value_kind:     by_value
      - .offset:         24
        .size:           8
        .value_kind:     by_value
      - .address_space:  global
        .offset:         32
        .size:           8
        .value_kind:     global_buffer
      - .offset:         40
        .size:           4
        .value_kind:     hidden_block_count_x
      - .offset:         44
        .size:           4
        .value_kind:     hidden_block_count_y
      - .offset:         48
        .size:           4
        .value_kind:     hidden_block_count_z
      - .offset:         52
        .size:           2
        .value_kind:     hidden_group_size_x
      - .offset:         54
        .size:           2
        .value_kind:     hidden_group_size_y
      - .offset:         56
        .size:           2
        .value_kind:     hidden_group_size_z
      - .offset:         58
        .size:           2
        .value_kind:     hidden_remainder_x
      - .offset:         60
        .size:           2
        .value_kind:     hidden_remainder_y
      - .offset:         62
        .size:           2
        .value_kind:     hidden_remainder_z
      - .offset:         80
        .size:           8
        .value_kind:     hidden_global_offset_x
      - .offset:         88
        .size:           8
        .value_kind:     hidden_global_offset_y
      - .offset:         96
        .size:           8
        .value_kind:     hidden_global_offset_z
      - .offset:         104
        .size:           2
        .value_kind:     hidden_grid_dims
    .group_segment_fixed_size: 4
    .kernarg_segment_align: 8
    .kernarg_segment_size: 296
    .language:       OpenCL C
    .language_version:
      - 2
      - 0
    .max_flat_workgroup_size: 1024
    .name:           _ZN9rocsolver6v33100L17check_singularityI19rocblas_complex_numIdEPS3_EEviT0_iilPi
    .private_segment_fixed_size: 0
    .sgpr_count:     18
    .sgpr_spill_count: 0
    .symbol:         _ZN9rocsolver6v33100L17check_singularityI19rocblas_complex_numIdEPS3_EEviT0_iilPi.kd
    .uniform_work_group_size: 1
    .uses_dynamic_stack: false
    .vgpr_count:     6
    .vgpr_spill_count: 0
    .wavefront_size: 32
    .workgroup_processor_mode: 1
  - .args:
      - .offset:         0
        .size:           4
        .value_kind:     by_value
      - .offset:         4
        .size:           4
        .value_kind:     by_value
      - .offset:         8
        .size:           4
        .value_kind:     by_value
      - .address_space:  global
        .offset:         16
        .size:           8
        .value_kind:     global_buffer
      - .offset:         24
        .size:           4
        .value_kind:     by_value
      - .offset:         28
        .size:           4
        .value_kind:     by_value
      - .offset:         32
        .size:           8
        .value_kind:     by_value
      - .address_space:  global
        .offset:         40
        .size:           8
        .value_kind:     global_buffer
      - .offset:         48
        .size:           16
        .value_kind:     by_value
      - .offset:         64
        .size:           4
        .value_kind:     by_value
      - .offset:         68
        .size:           4
        .value_kind:     by_value
      - .offset:         72
        .size:           4
        .value_kind:     hidden_block_count_x
      - .offset:         76
        .size:           4
        .value_kind:     hidden_block_count_y
      - .offset:         80
        .size:           4
        .value_kind:     hidden_block_count_z
      - .offset:         84
        .size:           2
        .value_kind:     hidden_group_size_x
      - .offset:         86
        .size:           2
        .value_kind:     hidden_group_size_y
      - .offset:         88
        .size:           2
        .value_kind:     hidden_group_size_z
      - .offset:         90
        .size:           2
        .value_kind:     hidden_remainder_x
      - .offset:         92
        .size:           2
        .value_kind:     hidden_remainder_y
      - .offset:         94
        .size:           2
        .value_kind:     hidden_remainder_z
      - .offset:         112
        .size:           8
        .value_kind:     hidden_global_offset_x
      - .offset:         120
        .size:           8
        .value_kind:     hidden_global_offset_y
      - .offset:         128
        .size:           8
        .value_kind:     hidden_global_offset_z
      - .offset:         136
        .size:           2
        .value_kind:     hidden_grid_dims
    .group_segment_fixed_size: 0
    .kernarg_segment_align: 8
    .kernarg_segment_size: 328
    .language:       OpenCL C
    .language_version:
      - 2
      - 0
    .max_flat_workgroup_size: 1024
    .name:           _ZN9rocsolver6v33100L8copy_matI19rocblas_complex_numIdEPS3_NS0_9info_maskEEEvNS0_17copymat_directionEiiT0_iilPT_T1_13rocblas_fill_17rocblas_diagonal_
    .private_segment_fixed_size: 0
    .sgpr_count:     20
    .sgpr_spill_count: 0
    .symbol:         _ZN9rocsolver6v33100L8copy_matI19rocblas_complex_numIdEPS3_NS0_9info_maskEEEvNS0_17copymat_directionEiiT0_iilPT_T1_13rocblas_fill_17rocblas_diagonal_.kd
    .uniform_work_group_size: 1
    .uses_dynamic_stack: false
    .vgpr_count:     9
    .vgpr_spill_count: 0
    .wavefront_size: 32
    .workgroup_processor_mode: 1
  - .args:
      - .offset:         0
        .size:           4
        .value_kind:     by_value
      - .offset:         4
        .size:           4
        .value_kind:     by_value
      - .offset:         8
        .size:           4
        .value_kind:     by_value
      - .address_space:  global
        .offset:         16
        .size:           8
        .value_kind:     global_buffer
      - .offset:         24
        .size:           4
        .value_kind:     by_value
      - .offset:         28
        .size:           4
        .value_kind:     by_value
      - .offset:         32
        .size:           8
        .value_kind:     by_value
      - .address_space:  global
        .offset:         40
        .size:           8
        .value_kind:     global_buffer
      - .offset:         48
        .size:           4
        .value_kind:     hidden_block_count_x
      - .offset:         52
        .size:           4
        .value_kind:     hidden_block_count_y
      - .offset:         56
        .size:           4
        .value_kind:     hidden_block_count_z
      - .offset:         60
        .size:           2
        .value_kind:     hidden_group_size_x
      - .offset:         62
        .size:           2
        .value_kind:     hidden_group_size_y
      - .offset:         64
        .size:           2
        .value_kind:     hidden_group_size_z
      - .offset:         66
        .size:           2
        .value_kind:     hidden_remainder_x
      - .offset:         68
        .size:           2
        .value_kind:     hidden_remainder_y
      - .offset:         70
        .size:           2
        .value_kind:     hidden_remainder_z
      - .offset:         88
        .size:           8
        .value_kind:     hidden_global_offset_x
      - .offset:         96
        .size:           8
        .value_kind:     hidden_global_offset_y
      - .offset:         104
        .size:           8
        .value_kind:     hidden_global_offset_z
      - .offset:         112
        .size:           2
        .value_kind:     hidden_grid_dims
    .group_segment_fixed_size: 0
    .kernarg_segment_align: 8
    .kernarg_segment_size: 304
    .language:       OpenCL C
    .language_version:
      - 2
      - 0
    .max_flat_workgroup_size: 1024
    .name:           _ZN9rocsolver6v33100L13gels_set_zeroI19rocblas_complex_numIdEPS3_EEviiiT0_iilPKi
    .private_segment_fixed_size: 0
    .sgpr_count:     18
    .sgpr_spill_count: 0
    .symbol:         _ZN9rocsolver6v33100L13gels_set_zeroI19rocblas_complex_numIdEPS3_EEviiiT0_iilPKi.kd
    .uniform_work_group_size: 1
    .uses_dynamic_stack: false
    .vgpr_count:     7
    .vgpr_spill_count: 0
    .wavefront_size: 32
    .workgroup_processor_mode: 1
amdhsa.target:   amdgcn-amd-amdhsa--gfx1100
amdhsa.version:
  - 1
  - 2
...

	.end_amdgpu_metadata
